;; amdgpu-corpus repo=ROCm/rocFFT kind=compiled arch=gfx1100 opt=O3
	.text
	.amdgcn_target "amdgcn-amd-amdhsa--gfx1100"
	.amdhsa_code_object_version 6
	.protected	bluestein_single_fwd_len1785_dim1_dp_op_CI_CI ; -- Begin function bluestein_single_fwd_len1785_dim1_dp_op_CI_CI
	.globl	bluestein_single_fwd_len1785_dim1_dp_op_CI_CI
	.p2align	8
	.type	bluestein_single_fwd_len1785_dim1_dp_op_CI_CI,@function
bluestein_single_fwd_len1785_dim1_dp_op_CI_CI: ; @bluestein_single_fwd_len1785_dim1_dp_op_CI_CI
; %bb.0:
	s_load_b128 s[4:7], s[0:1], 0x28
	v_mul_u32_u24_e32 v1, 0x227, v0
	s_mov_b32 s2, exec_lo
	v_mov_b32_e32 v4, 0
	s_delay_alu instid0(VALU_DEP_2) | instskip(NEXT) | instid1(VALU_DEP_1)
	v_lshrrev_b32_e32 v1, 16, v1
	v_add_nc_u32_e32 v3, s15, v1
	s_delay_alu instid0(VALU_DEP_1)
	v_mov_b32_e32 v2, v3
	scratch_store_b64 off, v[2:3], off      ; 8-byte Folded Spill
	s_waitcnt lgkmcnt(0)
	v_cmpx_gt_u64_e64 s[4:5], v[3:4]
	s_cbranch_execz .LBB0_23
; %bb.1:
	s_clause 0x1
	s_load_b64 s[12:13], s[0:1], 0x0
	s_load_b64 s[14:15], s[0:1], 0x38
	v_mul_lo_u16 v1, 0x77, v1
	s_delay_alu instid0(VALU_DEP_1) | instskip(NEXT) | instid1(VALU_DEP_1)
	v_sub_nc_u16 v0, v0, v1
	v_and_b32_e32 v224, 0xffff, v0
	v_cmp_gt_u16_e32 vcc_lo, 0x69, v0
	s_delay_alu instid0(VALU_DEP_2)
	v_lshlrev_b32_e32 v255, 4, v224
	s_and_saveexec_b32 s3, vcc_lo
	s_cbranch_execz .LBB0_3
; %bb.2:
	s_load_b64 s[4:5], s[0:1], 0x18
	s_waitcnt lgkmcnt(0)
	v_add_co_u32 v14, s2, s12, v255
	s_delay_alu instid0(VALU_DEP_1) | instskip(NEXT) | instid1(VALU_DEP_2)
	v_add_co_ci_u32_e64 v15, null, s13, 0, s2
	v_add_co_u32 v16, s2, 0x1000, v14
	s_delay_alu instid0(VALU_DEP_1) | instskip(SKIP_1) | instid1(VALU_DEP_1)
	v_add_co_ci_u32_e64 v17, s2, 0, v15, s2
	v_add_co_u32 v28, s2, 0x2000, v14
	v_add_co_ci_u32_e64 v29, s2, 0, v15, s2
	v_add_co_u32 v36, s2, 0x3000, v14
	s_delay_alu instid0(VALU_DEP_1)
	v_add_co_ci_u32_e64 v37, s2, 0, v15, s2
	v_add_co_u32 v48, s2, 0x4000, v14
	s_load_b128 s[8:11], s[4:5], 0x0
	s_clause 0x2
	global_load_b128 v[0:3], v255, s[12:13]
	global_load_b128 v[4:7], v255, s[12:13] offset:1680
	global_load_b128 v[8:11], v255, s[12:13] offset:3360
	scratch_load_b64 v[12:13], off, off     ; 8-byte Folded Reload
	v_add_co_ci_u32_e64 v49, s2, 0, v15, s2
	v_add_co_u32 v56, s2, 0x5000, v14
	s_delay_alu instid0(VALU_DEP_1) | instskip(SKIP_1) | instid1(VALU_DEP_1)
	v_add_co_ci_u32_e64 v57, s2, 0, v15, s2
	v_add_co_u32 v128, s2, 0x6000, v14
	v_add_co_ci_u32_e64 v129, s2, 0, v15, s2
	s_waitcnt lgkmcnt(0)
	v_mad_u64_u32 v[40:41], null, s8, v224, 0
	s_mul_i32 s4, s9, 0x690
	s_mul_hi_u32 s5, s8, 0x690
	s_delay_alu instid0(SALU_CYCLE_1) | instskip(SKIP_1) | instid1(VALU_DEP_1)
	s_add_i32 s5, s5, s4
	s_waitcnt vmcnt(0)
	v_mov_b32_e32 v13, v41
	s_delay_alu instid0(VALU_DEP_1) | instskip(NEXT) | instid1(VALU_DEP_1)
	v_mad_u64_u32 v[34:35], null, s9, v224, v[13:14]
	v_mov_b32_e32 v41, v34
	s_delay_alu instid0(VALU_DEP_1) | instskip(SKIP_1) | instid1(VALU_DEP_1)
	v_lshlrev_b64 v[40:41], 4, v[40:41]
	v_mov_b32_e32 v18, v12
	v_mad_u64_u32 v[32:33], null, s10, v18, 0
	s_delay_alu instid0(VALU_DEP_1) | instskip(NEXT) | instid1(VALU_DEP_1)
	v_mov_b32_e32 v12, v33
	v_mad_u64_u32 v[20:21], null, s11, v18, v[12:13]
	s_clause 0x1
	global_load_b128 v[12:15], v[16:17], off offset:944
	global_load_b128 v[16:19], v[16:17], off offset:2624
	v_mov_b32_e32 v33, v20
	s_clause 0x2
	global_load_b128 v[20:23], v[28:29], off offset:208
	global_load_b128 v[24:27], v[28:29], off offset:1888
	;; [unrolled: 1-line block ×3, first 2 shown]
	v_lshlrev_b64 v[42:43], 4, v[32:33]
	s_clause 0x1
	global_load_b128 v[32:35], v[36:37], off offset:1152
	global_load_b128 v[36:39], v[36:37], off offset:2832
	v_add_co_u32 v42, s2, s6, v42
	s_delay_alu instid0(VALU_DEP_1) | instskip(SKIP_1) | instid1(VALU_DEP_2)
	v_add_co_ci_u32_e64 v43, s2, s7, v43, s2
	s_mul_i32 s6, s8, 0x690
	v_add_co_u32 v60, s2, v42, v40
	s_delay_alu instid0(VALU_DEP_1) | instskip(SKIP_4) | instid1(VALU_DEP_1)
	v_add_co_ci_u32_e64 v61, s2, v43, v41, s2
	s_clause 0x1
	global_load_b128 v[40:43], v[48:49], off offset:416
	global_load_b128 v[44:47], v[48:49], off offset:2096
	v_add_co_u32 v64, s2, v60, s6
	v_add_co_ci_u32_e64 v65, s2, s5, v61, s2
	global_load_b128 v[48:51], v[48:49], off offset:3776
	v_add_co_u32 v68, s2, v64, s6
	s_delay_alu instid0(VALU_DEP_1) | instskip(SKIP_4) | instid1(VALU_DEP_1)
	v_add_co_ci_u32_e64 v69, s2, s5, v65, s2
	s_clause 0x1
	global_load_b128 v[52:55], v[56:57], off offset:1360
	global_load_b128 v[56:59], v[56:57], off offset:3040
	v_add_co_u32 v72, s2, v68, s6
	v_add_co_ci_u32_e64 v73, s2, s5, v69, s2
	s_clause 0x1
	global_load_b128 v[60:63], v[60:61], off
	global_load_b128 v[64:67], v[64:65], off
	v_add_co_u32 v76, s2, v72, s6
	s_delay_alu instid0(VALU_DEP_1) | instskip(SKIP_4) | instid1(VALU_DEP_1)
	v_add_co_ci_u32_e64 v77, s2, s5, v73, s2
	s_clause 0x1
	global_load_b128 v[68:71], v[68:69], off
	global_load_b128 v[72:75], v[72:73], off
	v_add_co_u32 v80, s2, v76, s6
	v_add_co_ci_u32_e64 v81, s2, s5, v77, s2
	global_load_b128 v[76:79], v[76:77], off
	v_add_co_u32 v84, s2, v80, s6
	s_delay_alu instid0(VALU_DEP_1) | instskip(SKIP_2) | instid1(VALU_DEP_1)
	v_add_co_ci_u32_e64 v85, s2, s5, v81, s2
	global_load_b128 v[80:83], v[80:81], off
	v_add_co_u32 v88, s2, v84, s6
	v_add_co_ci_u32_e64 v89, s2, s5, v85, s2
	global_load_b128 v[84:87], v[84:85], off
	v_add_co_u32 v92, s2, v88, s6
	s_delay_alu instid0(VALU_DEP_1) | instskip(SKIP_2) | instid1(VALU_DEP_1)
	v_add_co_ci_u32_e64 v93, s2, s5, v89, s2
	;; [unrolled: 7-line block ×5, first 2 shown]
	global_load_b128 v[112:115], v[112:113], off
	v_add_co_u32 v120, s2, v116, s6
	v_add_co_ci_u32_e64 v121, s2, s5, v117, s2
	s_delay_alu instid0(VALU_DEP_2) | instskip(NEXT) | instid1(VALU_DEP_1)
	v_add_co_u32 v132, s2, v120, s6
	v_add_co_ci_u32_e64 v133, s2, s5, v121, s2
	global_load_b128 v[116:119], v[116:117], off
	global_load_b128 v[120:123], v[120:121], off
	s_clause 0x1
	global_load_b128 v[124:127], v[128:129], off offset:624
	global_load_b128 v[128:131], v[128:129], off offset:2304
	global_load_b128 v[132:135], v[132:133], off
	s_waitcnt vmcnt(18)
	v_mul_f64 v[136:137], v[62:63], v[2:3]
	v_mul_f64 v[2:3], v[60:61], v[2:3]
	s_waitcnt vmcnt(17)
	v_mul_f64 v[138:139], v[66:67], v[6:7]
	v_mul_f64 v[6:7], v[64:65], v[6:7]
	;; [unrolled: 3-line block ×17, first 2 shown]
	v_fma_f64 v[58:59], v[60:61], v[0:1], v[136:137]
	v_fma_f64 v[60:61], v[62:63], v[0:1], -v[2:3]
	v_fma_f64 v[0:1], v[64:65], v[4:5], v[138:139]
	v_fma_f64 v[2:3], v[66:67], v[4:5], -v[6:7]
	;; [unrolled: 2-line block ×17, first 2 shown]
	ds_store_b128 v255, v[58:61]
	ds_store_b128 v255, v[0:3] offset:1680
	ds_store_b128 v255, v[4:7] offset:3360
	;; [unrolled: 1-line block ×16, first 2 shown]
.LBB0_3:
	s_or_b32 exec_lo, exec_lo, s3
	s_clause 0x1
	s_load_b64 s[4:5], s[0:1], 0x20
	s_load_b64 s[2:3], s[0:1], 0x8
	s_waitcnt lgkmcnt(0)
	s_waitcnt_vscnt null, 0x0
	s_barrier
	buffer_gl0_inv
                                        ; implicit-def: $vgpr0_vgpr1
                                        ; implicit-def: $vgpr20_vgpr21
                                        ; implicit-def: $vgpr28_vgpr29
                                        ; implicit-def: $vgpr32_vgpr33
                                        ; implicit-def: $vgpr36_vgpr37
                                        ; implicit-def: $vgpr52_vgpr53
                                        ; implicit-def: $vgpr56_vgpr57
                                        ; implicit-def: $vgpr64_vgpr65
                                        ; implicit-def: $vgpr68_vgpr69
                                        ; implicit-def: $vgpr72_vgpr73
                                        ; implicit-def: $vgpr60_vgpr61
                                        ; implicit-def: $vgpr48_vgpr49
                                        ; implicit-def: $vgpr24_vgpr25
                                        ; implicit-def: $vgpr16_vgpr17
                                        ; implicit-def: $vgpr12_vgpr13
                                        ; implicit-def: $vgpr8_vgpr9
                                        ; implicit-def: $vgpr4_vgpr5
	s_and_saveexec_b32 s0, vcc_lo
	s_cbranch_execz .LBB0_5
; %bb.4:
	ds_load_b128 v[0:3], v255
	ds_load_b128 v[20:23], v255 offset:1680
	ds_load_b128 v[28:31], v255 offset:3360
	;; [unrolled: 1-line block ×16, first 2 shown]
.LBB0_5:
	s_or_b32 exec_lo, exec_lo, s0
	s_waitcnt lgkmcnt(0)
	v_add_f64 v[162:163], v[22:23], -v[6:7]
	v_add_f64 v[168:169], v[20:21], -v[4:5]
	s_mov_b32 s0, 0x5d8e7cdc
	s_mov_b32 s8, 0x2a9d6da3
	s_mov_b32 s1, 0xbfd71e95
	s_mov_b32 s9, 0xbfe58eea
	v_add_f64 v[160:161], v[20:21], v[4:5]
	v_add_f64 v[166:167], v[22:23], v[6:7]
	v_add_f64 v[90:91], v[30:31], -v[10:11]
	v_add_f64 v[76:77], v[28:29], -v[8:9]
	s_mov_b32 s6, 0x370991
	s_mov_b32 s10, 0x75d4884
	s_mov_b32 s20, 0xeb564b22
	s_mov_b32 s7, 0x3fedd6d0
	s_mov_b32 s11, 0x3fe7a5f6
	s_mov_b32 s21, 0xbfefdd0d
	v_add_f64 v[78:79], v[28:29], v[8:9]
	v_add_f64 v[94:95], v[30:31], v[10:11]
	v_add_f64 v[96:97], v[34:35], -v[14:15]
	v_add_f64 v[80:81], v[32:33], -v[12:13]
	s_mov_b32 s16, 0x3259b75e
	s_mov_b32 s26, 0x7c9e640b
	;; [unrolled: 10-line block ×3, first 2 shown]
	s_mov_b32 s24, 0xacd6c6b4
	s_mov_b32 s29, 0x3fdc86fa
	;; [unrolled: 1-line block ×4, first 2 shown]
	v_add_f64 v[86:87], v[36:37], v[16:17]
	v_add_f64 v[110:111], v[38:39], v[18:19]
	v_mul_f64 v[176:177], v[162:163], s[0:1]
	v_mul_f64 v[184:185], v[168:169], s[0:1]
	;; [unrolled: 1-line block ×4, first 2 shown]
	v_add_f64 v[88:89], v[52:53], -v[24:25]
	v_add_f64 v[114:115], v[54:55], -v[26:27]
	s_mov_b32 s30, 0x7faef3
	s_mov_b32 s34, 0x923c349f
	v_mul_f64 v[136:137], v[90:91], s[8:9]
	v_mul_f64 v[138:139], v[76:77], s[8:9]
	;; [unrolled: 1-line block ×4, first 2 shown]
	s_mov_b32 s36, 0x4363dd80
	s_mov_b32 s31, 0xbfef7484
	;; [unrolled: 1-line block ×4, first 2 shown]
	v_add_f64 v[118:119], v[54:55], v[26:27]
	v_add_f64 v[120:121], v[58:59], -v[50:51]
	v_mul_f64 v[144:145], v[96:97], s[26:27]
	v_mul_f64 v[148:149], v[80:81], s[26:27]
	v_mul_f64 v[140:141], v[96:97], s[18:19]
	v_mul_f64 v[142:143], v[80:81], s[18:19]
	s_mov_b32 s40, 0xc61f0d01
	s_mov_b32 s38, 0x910ea3b9
	s_mov_b32 s41, 0xbfd183b1
	s_mov_b32 s39, 0xbfeb34fa
	s_mov_b32 s49, 0x3feec746
	s_mov_b32 s48, s34
	v_mul_f64 v[158:159], v[84:85], s[20:21]
	v_mul_f64 v[152:153], v[106:107], s[20:21]
	;; [unrolled: 1-line block ×4, first 2 shown]
	v_add_f64 v[124:125], v[66:67], -v[62:63]
	s_mov_b32 s47, 0xbfe0d888
	s_mov_b32 s43, 0x3feca52d
	;; [unrolled: 1-line block ×5, first 2 shown]
	v_fma_f64 v[40:41], v[160:161], s[6:7], v[176:177]
	v_fma_f64 v[42:43], v[166:167], s[6:7], -v[184:185]
	v_fma_f64 v[44:45], v[160:161], s[10:11], v[186:187]
	v_fma_f64 v[46:47], v[166:167], s[10:11], -v[192:193]
	v_mul_f64 v[174:175], v[88:89], s[34:35]
	v_mul_f64 v[172:173], v[114:115], s[34:35]
	;; [unrolled: 1-line block ×4, first 2 shown]
	v_fma_f64 v[92:93], v[78:79], s[10:11], v[136:137]
	v_fma_f64 v[98:99], v[94:95], s[10:11], -v[138:139]
	v_fma_f64 v[102:103], v[78:79], s[16:17], v[126:127]
	v_fma_f64 v[104:105], v[94:95], s[16:17], -v[130:131]
	s_mov_b32 s44, s0
	s_barrier
	buffer_gl0_inv
	v_mul_f64 v[182:183], v[120:121], s[18:19]
	v_fma_f64 v[108:109], v[82:83], s[28:29], v[144:145]
	v_fma_f64 v[112:113], v[100:101], s[28:29], -v[148:149]
	v_fma_f64 v[116:117], v[82:83], s[22:23], v[140:141]
	v_fma_f64 v[122:123], v[100:101], s[22:23], -v[142:143]
	v_mul_f64 v[164:165], v[120:121], s[48:49]
	v_fma_f64 v[132:133], v[110:111], s[16:17], -v[158:159]
	v_fma_f64 v[128:129], v[86:87], s[16:17], v[152:153]
	v_fma_f64 v[134:135], v[86:87], s[30:31], v[146:147]
	v_fma_f64 v[178:179], v[110:111], s[30:31], -v[150:151]
	v_mul_f64 v[196:197], v[124:125], s[46:47]
	v_add_f64 v[40:41], v[0:1], v[40:41]
	v_add_f64 v[42:43], v[2:3], v[42:43]
	;; [unrolled: 1-line block ×4, first 2 shown]
	v_fma_f64 v[190:191], v[118:119], s[40:41], -v[174:175]
	v_fma_f64 v[200:201], v[118:119], s[38:39], -v[156:157]
	v_add_f64 v[40:41], v[92:93], v[40:41]
	v_add_f64 v[42:43], v[98:99], v[42:43]
	v_add_f64 v[44:45], v[102:103], v[44:45]
	v_add_f64 v[46:47], v[104:105], v[46:47]
	v_add_f64 v[92:93], v[52:53], v[24:25]
	v_add_f64 v[98:99], v[56:57], -v[48:49]
	v_add_f64 v[102:103], v[56:57], v[48:49]
	v_add_f64 v[104:105], v[64:65], -v[60:61]
	v_add_f64 v[40:41], v[108:109], v[40:41]
	v_add_f64 v[42:43], v[112:113], v[42:43]
	;; [unrolled: 1-line block ×5, first 2 shown]
	v_mul_f64 v[188:189], v[98:99], s[18:19]
	v_mul_f64 v[170:171], v[98:99], s[48:49]
	v_fma_f64 v[116:117], v[92:93], s[40:41], v[172:173]
	v_fma_f64 v[194:195], v[92:93], s[38:39], v[154:155]
	v_add_f64 v[108:109], v[64:65], v[60:61]
	v_add_f64 v[112:113], v[68:69], -v[72:73]
	v_mul_f64 v[198:199], v[104:105], s[46:47]
	v_mul_f64 v[180:181], v[104:105], s[42:43]
	v_fma_f64 v[204:205], v[102:103], s[22:23], v[182:183]
	v_fma_f64 v[208:209], v[102:103], s[40:41], v[164:165]
	v_add_f64 v[40:41], v[128:129], v[40:41]
	v_add_f64 v[42:43], v[132:133], v[42:43]
	;; [unrolled: 1-line block ×5, first 2 shown]
	v_add_f64 v[132:133], v[70:71], -v[74:75]
	v_mul_f64 v[178:179], v[124:125], s[42:43]
	v_fma_f64 v[206:207], v[122:123], s[22:23], -v[188:189]
	v_fma_f64 v[210:211], v[122:123], s[40:41], -v[170:171]
	v_add_f64 v[134:135], v[70:71], v[74:75]
	v_mul_f64 v[202:203], v[112:113], s[24:25]
	v_fma_f64 v[212:213], v[108:109], s[38:39], v[196:197]
	v_add_f64 v[40:41], v[116:117], v[40:41]
	v_add_f64 v[42:43], v[190:191], v[42:43]
	;; [unrolled: 1-line block ×5, first 2 shown]
	v_mul_f64 v[200:201], v[132:133], s[24:25]
	v_mul_f64 v[190:191], v[132:133], s[44:45]
	;; [unrolled: 1-line block ×3, first 2 shown]
	v_fma_f64 v[214:215], v[128:129], s[38:39], -v[198:199]
	v_fma_f64 v[216:217], v[108:109], s[28:29], v[178:179]
	v_fma_f64 v[218:219], v[128:129], s[28:29], -v[180:181]
	v_add_f64 v[40:41], v[204:205], v[40:41]
	v_add_f64 v[42:43], v[206:207], v[42:43]
	;; [unrolled: 1-line block ×4, first 2 shown]
	v_fma_f64 v[206:207], v[134:135], s[30:31], -v[202:203]
	v_fma_f64 v[204:205], v[116:117], s[30:31], v[200:201]
	v_fma_f64 v[208:209], v[116:117], s[6:7], v[190:191]
	v_fma_f64 v[210:211], v[134:135], s[6:7], -v[194:195]
	v_add_f64 v[40:41], v[212:213], v[40:41]
	v_add_f64 v[42:43], v[214:215], v[42:43]
	;; [unrolled: 1-line block ×4, first 2 shown]
	s_delay_alu instid0(VALU_DEP_4) | instskip(NEXT) | instid1(VALU_DEP_4)
	v_add_f64 v[44:45], v[204:205], v[40:41]
	v_add_f64 v[46:47], v[206:207], v[42:43]
	s_delay_alu instid0(VALU_DEP_4) | instskip(NEXT) | instid1(VALU_DEP_4)
	v_add_f64 v[40:41], v[208:209], v[212:213]
	v_add_f64 v[42:43], v[210:211], v[214:215]
	s_and_saveexec_b32 s33, vcc_lo
	s_cbranch_execz .LBB0_7
; %bb.6:
	v_add_f64 v[20:21], v[0:1], v[20:21]
	v_add_f64 v[22:23], v[2:3], v[22:23]
	s_mov_b32 s53, 0x3fe9895b
	s_mov_b32 s52, s18
	;; [unrolled: 1-line block ×8, first 2 shown]
	v_mul_f64 v[206:207], v[134:135], s[16:17]
	v_mul_f64 v[208:209], v[132:133], s[50:51]
	;; [unrolled: 1-line block ×4, first 2 shown]
	v_add_f64 v[20:21], v[20:21], v[28:29]
	v_add_f64 v[22:23], v[22:23], v[30:31]
	v_mul_f64 v[28:29], v[166:167], s[28:29]
	s_delay_alu instid0(VALU_DEP_3) | instskip(NEXT) | instid1(VALU_DEP_3)
	v_add_f64 v[20:21], v[20:21], v[32:33]
	v_add_f64 v[22:23], v[22:23], v[34:35]
	v_mul_f64 v[34:35], v[160:161], s[10:11]
	s_delay_alu instid0(VALU_DEP_4)
	v_fma_f64 v[30:31], v[168:169], s[42:43], v[28:29]
	v_fma_f64 v[28:29], v[168:169], s[26:27], v[28:29]
	v_mul_f64 v[32:33], v[166:167], s[10:11]
	v_add_f64 v[20:21], v[20:21], v[36:37]
	v_add_f64 v[22:23], v[22:23], v[38:39]
	v_mul_f64 v[38:39], v[162:163], s[24:25]
	v_add_f64 v[34:35], v[34:35], -v[186:187]
	v_mul_f64 v[36:37], v[166:167], s[6:7]
	v_add_f64 v[32:33], v[192:193], v[32:33]
	v_add_f64 v[28:29], v[2:3], v[28:29]
	;; [unrolled: 1-line block ×4, first 2 shown]
	v_mul_f64 v[52:53], v[162:163], s[34:35]
	v_mul_f64 v[54:55], v[162:163], s[20:21]
	v_add_f64 v[36:37], v[184:185], v[36:37]
	v_add_f64 v[184:185], v[2:3], v[30:31]
	;; [unrolled: 1-line block ×4, first 2 shown]
	v_mul_f64 v[56:57], v[162:163], s[26:27]
	v_fma_f64 v[58:59], v[160:161], s[30:31], v[38:39]
	v_fma_f64 v[38:39], v[160:161], s[30:31], -v[38:39]
	v_add_f64 v[20:21], v[20:21], v[64:65]
	v_add_f64 v[22:23], v[22:23], v[66:67]
	v_fma_f64 v[64:65], v[160:161], s[40:41], v[52:53]
	v_fma_f64 v[52:53], v[160:161], s[40:41], -v[52:53]
	v_fma_f64 v[66:67], v[160:161], s[16:17], v[54:55]
	v_fma_f64 v[54:55], v[160:161], s[16:17], -v[54:55]
	v_add_f64 v[58:59], v[0:1], v[58:59]
	v_add_f64 v[38:39], v[0:1], v[38:39]
	v_add_f64 v[20:21], v[20:21], v[68:69]
	v_add_f64 v[22:23], v[22:23], v[70:71]
	v_mul_f64 v[70:71], v[160:161], s[6:7]
	v_fma_f64 v[68:69], v[160:161], s[28:29], v[56:57]
	v_fma_f64 v[56:57], v[160:161], s[28:29], -v[56:57]
	v_add_f64 v[64:65], v[0:1], v[64:65]
	v_add_f64 v[52:53], v[0:1], v[52:53]
	v_add_f64 v[66:67], v[0:1], v[66:67]
	v_add_f64 v[54:55], v[0:1], v[54:55]
	v_add_f64 v[20:21], v[20:21], v[72:73]
	v_add_f64 v[22:23], v[22:23], v[74:75]
	v_add_f64 v[70:71], v[70:71], -v[176:177]
	v_add_f64 v[68:69], v[0:1], v[68:69]
	v_add_f64 v[30:31], v[0:1], v[56:57]
	;; [unrolled: 1-line block ×4, first 2 shown]
	s_delay_alu instid0(VALU_DEP_2) | instskip(NEXT) | instid1(VALU_DEP_2)
	v_add_f64 v[20:21], v[20:21], v[48:49]
	v_add_f64 v[22:23], v[22:23], v[50:51]
	v_mul_f64 v[48:49], v[162:163], s[46:47]
	v_mul_f64 v[50:51], v[162:163], s[18:19]
	s_delay_alu instid0(VALU_DEP_4) | instskip(NEXT) | instid1(VALU_DEP_4)
	v_add_f64 v[20:21], v[20:21], v[24:25]
	v_add_f64 v[22:23], v[22:23], v[26:27]
	v_mul_f64 v[24:25], v[166:167], s[16:17]
	v_fma_f64 v[60:61], v[160:161], s[38:39], v[48:49]
	v_fma_f64 v[48:49], v[160:161], s[38:39], -v[48:49]
	v_fma_f64 v[62:63], v[160:161], s[22:23], v[50:51]
	v_fma_f64 v[50:51], v[160:161], s[22:23], -v[50:51]
	v_add_f64 v[16:17], v[20:21], v[16:17]
	v_add_f64 v[18:19], v[22:23], v[18:19]
	v_mul_f64 v[20:21], v[166:167], s[40:41]
	v_fma_f64 v[26:27], v[168:169], s[50:51], v[24:25]
	v_fma_f64 v[24:25], v[168:169], s[20:21], v[24:25]
	v_add_f64 v[60:61], v[0:1], v[60:61]
	v_add_f64 v[48:49], v[0:1], v[48:49]
	;; [unrolled: 1-line block ×6, first 2 shown]
	v_mul_f64 v[16:17], v[166:167], s[22:23]
	v_fma_f64 v[22:23], v[168:169], s[48:49], v[20:21]
	v_fma_f64 v[20:21], v[168:169], s[34:35], v[20:21]
	v_add_f64 v[176:177], v[2:3], v[24:25]
	v_add_f64 v[24:25], v[2:3], v[32:33]
	;; [unrolled: 1-line block ×3, first 2 shown]
	v_mul_f64 v[12:13], v[166:167], s[38:39]
	v_add_f64 v[10:11], v[14:15], v[10:11]
	v_fma_f64 v[18:19], v[168:169], s[52:53], v[16:17]
	v_fma_f64 v[16:17], v[168:169], s[18:19], v[16:17]
	v_add_f64 v[162:163], v[2:3], v[22:23]
	v_add_f64 v[22:23], v[0:1], v[70:71]
	;; [unrolled: 1-line block ×3, first 2 shown]
	v_mul_f64 v[8:9], v[166:167], s[30:31]
	v_fma_f64 v[14:15], v[168:169], s[36:37], v[12:13]
	v_fma_f64 v[12:13], v[168:169], s[46:47], v[12:13]
	v_add_f64 v[6:7], v[10:11], v[6:7]
	v_add_f64 v[160:161], v[2:3], v[16:17]
	v_mul_f64 v[16:17], v[100:101], s[38:39]
	v_add_f64 v[74:75], v[2:3], v[18:19]
	v_add_f64 v[166:167], v[2:3], v[20:21]
	;; [unrolled: 1-line block ×3, first 2 shown]
	v_fma_f64 v[10:11], v[168:169], s[54:55], v[8:9]
	v_fma_f64 v[8:9], v[168:169], s[24:25], v[8:9]
	v_add_f64 v[72:73], v[2:3], v[12:13]
	v_mul_f64 v[12:13], v[94:95], s[6:7]
	v_add_f64 v[168:169], v[2:3], v[26:27]
	v_add_f64 v[26:27], v[0:1], v[34:35]
	v_fma_f64 v[18:19], v[80:81], s[36:37], v[16:17]
	v_add_f64 v[14:15], v[2:3], v[14:15]
	v_add_f64 v[10:11], v[2:3], v[10:11]
	;; [unrolled: 1-line block ×3, first 2 shown]
	v_fma_f64 v[0:1], v[76:77], s[0:1], v[12:13]
	v_fma_f64 v[12:13], v[76:77], s[44:45], v[12:13]
	s_delay_alu instid0(VALU_DEP_2) | instskip(SKIP_1) | instid1(VALU_DEP_3)
	v_add_f64 v[0:1], v[0:1], v[10:11]
	v_mul_f64 v[10:11], v[90:91], s[44:45]
	v_add_f64 v[8:9], v[12:13], v[8:9]
	v_fma_f64 v[12:13], v[80:81], s[46:47], v[16:17]
	v_fma_f64 v[16:17], v[116:117], s[16:17], -v[208:209]
	v_add_f64 v[0:1], v[18:19], v[0:1]
	v_fma_f64 v[2:3], v[78:79], s[6:7], v[10:11]
	v_mul_f64 v[18:19], v[96:97], s[46:47]
	v_fma_f64 v[10:11], v[78:79], s[6:7], -v[10:11]
	v_add_f64 v[8:9], v[12:13], v[8:9]
	s_delay_alu instid0(VALU_DEP_4) | instskip(NEXT) | instid1(VALU_DEP_4)
	v_add_f64 v[2:3], v[2:3], v[58:59]
	v_fma_f64 v[32:33], v[82:83], s[38:39], v[18:19]
	s_delay_alu instid0(VALU_DEP_4) | instskip(SKIP_2) | instid1(VALU_DEP_4)
	v_add_f64 v[10:11], v[10:11], v[38:39]
	v_fma_f64 v[12:13], v[82:83], s[38:39], -v[18:19]
	v_mul_f64 v[18:19], v[90:91], s[42:43]
	v_add_f64 v[2:3], v[32:33], v[2:3]
	v_mul_f64 v[32:33], v[110:111], s[10:11]
	s_delay_alu instid0(VALU_DEP_4) | instskip(NEXT) | instid1(VALU_DEP_2)
	v_add_f64 v[10:11], v[12:13], v[10:11]
	v_fma_f64 v[34:35], v[84:85], s[8:9], v[32:33]
	v_fma_f64 v[12:13], v[84:85], s[56:57], v[32:33]
	v_mul_f64 v[32:33], v[100:101], s[16:17]
	s_delay_alu instid0(VALU_DEP_3) | instskip(SKIP_1) | instid1(VALU_DEP_4)
	v_add_f64 v[0:1], v[34:35], v[0:1]
	v_mul_f64 v[34:35], v[106:107], s[56:57]
	v_add_f64 v[8:9], v[12:13], v[8:9]
	s_delay_alu instid0(VALU_DEP_2) | instskip(SKIP_3) | instid1(VALU_DEP_4)
	v_fma_f64 v[36:37], v[86:87], s[10:11], v[34:35]
	v_fma_f64 v[12:13], v[86:87], s[10:11], -v[34:35]
	v_fma_f64 v[34:35], v[80:81], s[50:51], v[32:33]
	v_fma_f64 v[32:33], v[80:81], s[20:21], v[32:33]
	v_add_f64 v[2:3], v[36:37], v[2:3]
	v_mul_f64 v[36:37], v[118:119], s[22:23]
	v_add_f64 v[10:11], v[12:13], v[10:11]
	s_delay_alu instid0(VALU_DEP_2) | instskip(SKIP_1) | instid1(VALU_DEP_2)
	v_fma_f64 v[56:57], v[88:89], s[52:53], v[36:37]
	v_fma_f64 v[12:13], v[88:89], s[18:19], v[36:37]
	v_add_f64 v[0:1], v[56:57], v[0:1]
	v_mul_f64 v[56:57], v[114:115], s[18:19]
	s_delay_alu instid0(VALU_DEP_3) | instskip(NEXT) | instid1(VALU_DEP_2)
	v_add_f64 v[8:9], v[12:13], v[8:9]
	v_fma_f64 v[58:59], v[92:93], s[22:23], v[56:57]
	v_fma_f64 v[12:13], v[92:93], s[22:23], -v[56:57]
	s_delay_alu instid0(VALU_DEP_2) | instskip(SKIP_1) | instid1(VALU_DEP_3)
	v_add_f64 v[2:3], v[58:59], v[2:3]
	v_mul_f64 v[58:59], v[122:123], s[28:29]
	v_add_f64 v[10:11], v[12:13], v[10:11]
	s_delay_alu instid0(VALU_DEP_2) | instskip(SKIP_1) | instid1(VALU_DEP_2)
	v_fma_f64 v[70:71], v[98:99], s[26:27], v[58:59]
	v_fma_f64 v[12:13], v[98:99], s[42:43], v[58:59]
	v_add_f64 v[0:1], v[70:71], v[0:1]
	v_mul_f64 v[70:71], v[120:121], s[42:43]
	s_delay_alu instid0(VALU_DEP_3) | instskip(NEXT) | instid1(VALU_DEP_2)
	v_add_f64 v[8:9], v[12:13], v[8:9]
	v_fma_f64 v[186:187], v[102:103], s[28:29], v[70:71]
	v_fma_f64 v[12:13], v[102:103], s[28:29], -v[70:71]
	s_delay_alu instid0(VALU_DEP_2) | instskip(SKIP_1) | instid1(VALU_DEP_3)
	v_add_f64 v[2:3], v[186:187], v[2:3]
	v_mul_f64 v[186:187], v[128:129], s[40:41]
	v_add_f64 v[10:11], v[12:13], v[10:11]
	s_delay_alu instid0(VALU_DEP_2) | instskip(SKIP_1) | instid1(VALU_DEP_2)
	v_fma_f64 v[192:193], v[104:105], s[48:49], v[186:187]
	v_fma_f64 v[12:13], v[104:105], s[34:35], v[186:187]
	v_add_f64 v[0:1], v[192:193], v[0:1]
	v_mul_f64 v[192:193], v[124:125], s[34:35]
	s_delay_alu instid0(VALU_DEP_3) | instskip(NEXT) | instid1(VALU_DEP_2)
	v_add_f64 v[8:9], v[12:13], v[8:9]
	v_fma_f64 v[12:13], v[108:109], s[40:41], -v[192:193]
	v_fma_f64 v[204:205], v[108:109], s[40:41], v[192:193]
	s_delay_alu instid0(VALU_DEP_2) | instskip(SKIP_1) | instid1(VALU_DEP_3)
	v_add_f64 v[12:13], v[12:13], v[10:11]
	v_fma_f64 v[10:11], v[112:113], s[50:51], v[206:207]
	v_add_f64 v[204:205], v[204:205], v[2:3]
	v_fma_f64 v[2:3], v[112:113], s[20:21], v[206:207]
	v_mul_f64 v[206:207], v[134:135], s[40:41]
	s_delay_alu instid0(VALU_DEP_4)
	v_add_f64 v[10:11], v[10:11], v[8:9]
	v_add_f64 v[8:9], v[16:17], v[12:13]
	v_mul_f64 v[16:17], v[94:95], s[28:29]
	v_add_f64 v[2:3], v[2:3], v[0:1]
	v_fma_f64 v[0:1], v[116:117], s[16:17], v[208:209]
	v_mul_f64 v[208:209], v[132:133], s[34:35]
	s_delay_alu instid0(VALU_DEP_4) | instskip(SKIP_1) | instid1(VALU_DEP_4)
	v_fma_f64 v[12:13], v[76:77], s[26:27], v[16:17]
	v_fma_f64 v[16:17], v[76:77], s[42:43], v[16:17]
	v_add_f64 v[0:1], v[0:1], v[204:205]
	s_delay_alu instid0(VALU_DEP_3) | instskip(SKIP_1) | instid1(VALU_DEP_4)
	v_add_f64 v[12:13], v[12:13], v[14:15]
	v_fma_f64 v[14:15], v[78:79], s[28:29], v[18:19]
	v_add_f64 v[16:17], v[16:17], v[72:73]
	v_fma_f64 v[18:19], v[78:79], s[28:29], -v[18:19]
	v_mul_f64 v[72:73], v[90:91], s[18:19]
	v_add_f64 v[12:13], v[34:35], v[12:13]
	v_mul_f64 v[34:35], v[96:97], s[20:21]
	v_add_f64 v[14:15], v[14:15], v[60:61]
	v_add_f64 v[18:19], v[18:19], v[48:49]
	;; [unrolled: 1-line block ×3, first 2 shown]
	v_mul_f64 v[48:49], v[82:83], s[28:29]
	v_fma_f64 v[36:37], v[82:83], s[16:17], v[34:35]
	v_fma_f64 v[32:33], v[82:83], s[16:17], -v[34:35]
	v_fma_f64 v[34:35], v[116:117], s[40:41], -v[208:209]
	s_delay_alu instid0(VALU_DEP_4) | instskip(SKIP_4) | instid1(VALU_DEP_2)
	v_add_f64 v[48:49], v[48:49], -v[144:145]
	v_mul_f64 v[144:145], v[122:123], s[6:7]
	v_add_f64 v[14:15], v[36:37], v[14:15]
	v_mul_f64 v[36:37], v[110:111], s[22:23]
	v_add_f64 v[18:19], v[32:33], v[18:19]
	v_fma_f64 v[38:39], v[84:85], s[18:19], v[36:37]
	v_fma_f64 v[32:33], v[84:85], s[52:53], v[36:37]
	v_mul_f64 v[36:37], v[94:95], s[10:11]
	s_delay_alu instid0(VALU_DEP_3) | instskip(SKIP_1) | instid1(VALU_DEP_4)
	v_add_f64 v[12:13], v[38:39], v[12:13]
	v_mul_f64 v[38:39], v[106:107], s[52:53]
	v_add_f64 v[16:17], v[32:33], v[16:17]
	s_delay_alu instid0(VALU_DEP_4) | instskip(SKIP_1) | instid1(VALU_DEP_4)
	v_add_f64 v[36:37], v[138:139], v[36:37]
	v_mul_f64 v[138:139], v[106:107], s[48:49]
	v_fma_f64 v[56:57], v[86:87], s[22:23], v[38:39]
	v_fma_f64 v[32:33], v[86:87], s[22:23], -v[38:39]
	v_mul_f64 v[38:39], v[86:87], s[16:17]
	v_add_f64 v[20:21], v[36:37], v[20:21]
	v_mul_f64 v[36:37], v[102:103], s[22:23]
	v_add_f64 v[14:15], v[56:57], v[14:15]
	;; [unrolled: 2-line block ×3, first 2 shown]
	v_add_f64 v[38:39], v[38:39], -v[152:153]
	v_add_f64 v[36:37], v[36:37], -v[182:183]
	v_mul_f64 v[152:153], v[134:135], s[38:39]
	v_mul_f64 v[182:183], v[128:129], s[22:23]
	v_fma_f64 v[58:59], v[88:89], s[44:45], v[56:57]
	v_fma_f64 v[32:33], v[88:89], s[0:1], v[56:57]
	v_mul_f64 v[56:57], v[78:79], s[10:11]
	s_delay_alu instid0(VALU_DEP_3) | instskip(SKIP_1) | instid1(VALU_DEP_4)
	v_add_f64 v[12:13], v[58:59], v[12:13]
	v_mul_f64 v[58:59], v[114:115], s[0:1]
	v_add_f64 v[16:17], v[32:33], v[16:17]
	s_delay_alu instid0(VALU_DEP_4) | instskip(SKIP_1) | instid1(VALU_DEP_4)
	v_add_f64 v[56:57], v[56:57], -v[136:137]
	v_mul_f64 v[136:137], v[110:111], s[40:41]
	v_fma_f64 v[60:61], v[92:93], s[6:7], v[58:59]
	v_fma_f64 v[32:33], v[92:93], s[6:7], -v[58:59]
	s_delay_alu instid0(VALU_DEP_4)
	v_add_f64 v[22:23], v[56:57], v[22:23]
	v_mul_f64 v[58:59], v[118:119], s[40:41]
	v_mul_f64 v[56:57], v[78:79], s[16:17]
	v_add_f64 v[14:15], v[60:61], v[14:15]
	v_mul_f64 v[60:61], v[122:123], s[30:31]
	v_add_f64 v[18:19], v[32:33], v[18:19]
	v_add_f64 v[22:23], v[48:49], v[22:23]
	;; [unrolled: 1-line block ×3, first 2 shown]
	v_mul_f64 v[48:49], v[82:83], s[22:23]
	v_add_f64 v[56:57], v[56:57], -v[126:127]
	v_mul_f64 v[126:127], v[100:101], s[30:31]
	v_mul_f64 v[174:175], v[118:119], s[28:29]
	v_fma_f64 v[70:71], v[98:99], s[54:55], v[60:61]
	v_fma_f64 v[32:33], v[98:99], s[24:25], v[60:61]
	v_mul_f64 v[60:61], v[92:93], s[40:41]
	v_add_f64 v[22:23], v[38:39], v[22:23]
	v_mul_f64 v[38:39], v[134:135], s[30:31]
	v_add_f64 v[48:49], v[48:49], -v[140:141]
	v_add_f64 v[26:27], v[56:57], v[26:27]
	v_mul_f64 v[140:141], v[118:119], s[10:11]
	v_mul_f64 v[56:57], v[94:95], s[38:39]
	v_add_f64 v[12:13], v[70:71], v[12:13]
	v_mul_f64 v[70:71], v[120:121], s[24:25]
	v_add_f64 v[16:17], v[32:33], v[16:17]
	v_add_f64 v[60:61], v[60:61], -v[172:173]
	v_add_f64 v[38:39], v[202:203], v[38:39]
	v_mul_f64 v[172:173], v[106:107], s[44:45]
	v_add_f64 v[26:27], v[48:49], v[26:27]
	v_mul_f64 v[202:203], v[122:123], s[16:17]
	v_fma_f64 v[186:187], v[102:103], s[30:31], v[70:71]
	v_fma_f64 v[32:33], v[102:103], s[30:31], -v[70:71]
	v_mul_f64 v[70:71], v[122:123], s[22:23]
	v_add_f64 v[22:23], v[60:61], v[22:23]
	v_mul_f64 v[60:61], v[92:93], s[38:39]
	v_add_f64 v[14:15], v[186:187], v[14:15]
	;; [unrolled: 2-line block ×3, first 2 shown]
	v_add_f64 v[70:71], v[188:189], v[70:71]
	v_add_f64 v[22:23], v[36:37], v[22:23]
	v_mul_f64 v[36:37], v[116:117], s[30:31]
	v_add_f64 v[60:61], v[60:61], -v[154:155]
	v_mul_f64 v[154:155], v[132:133], s[46:47]
	v_mul_f64 v[188:189], v[134:135], s[10:11]
	v_fma_f64 v[192:193], v[104:105], s[8:9], v[186:187]
	v_fma_f64 v[32:33], v[104:105], s[56:57], v[186:187]
	v_mul_f64 v[186:187], v[124:125], s[52:53]
	v_add_f64 v[36:37], v[36:37], -v[200:201]
	v_mul_f64 v[200:201], v[114:115], s[24:25]
	v_add_f64 v[12:13], v[192:193], v[12:13]
	v_mul_f64 v[192:193], v[124:125], s[56:57]
	v_add_f64 v[16:17], v[32:33], v[16:17]
	s_delay_alu instid0(VALU_DEP_2) | instskip(SKIP_2) | instid1(VALU_DEP_3)
	v_fma_f64 v[32:33], v[108:109], s[10:11], -v[192:193]
	v_fma_f64 v[204:205], v[108:109], s[10:11], v[192:193]
	v_mul_f64 v[192:193], v[96:97], s[56:57]
	v_add_f64 v[32:33], v[32:33], v[18:19]
	v_fma_f64 v[18:19], v[112:113], s[34:35], v[206:207]
	s_delay_alu instid0(VALU_DEP_4) | instskip(SKIP_2) | instid1(VALU_DEP_4)
	v_add_f64 v[204:205], v[204:205], v[14:15]
	v_fma_f64 v[14:15], v[112:113], s[48:49], v[206:207]
	v_mul_f64 v[206:207], v[128:129], s[6:7]
	v_add_f64 v[18:19], v[18:19], v[16:17]
	v_add_f64 v[16:17], v[34:35], v[32:33]
	v_mul_f64 v[34:35], v[100:101], s[28:29]
	v_mul_f64 v[32:33], v[110:111], s[16:17]
	v_add_f64 v[14:15], v[14:15], v[12:13]
	v_fma_f64 v[12:13], v[116:117], s[40:41], v[208:209]
	v_mul_f64 v[208:209], v[124:125], s[0:1]
	v_add_f64 v[34:35], v[148:149], v[34:35]
	v_add_f64 v[32:33], v[158:159], v[32:33]
	v_mul_f64 v[148:149], v[128:129], s[16:17]
	v_mul_f64 v[158:159], v[100:101], s[40:41]
	v_add_f64 v[12:13], v[12:13], v[204:205]
	v_mul_f64 v[204:205], v[120:121], s[50:51]
	v_add_f64 v[20:21], v[34:35], v[20:21]
	v_mul_f64 v[34:35], v[128:129], s[38:39]
	s_delay_alu instid0(VALU_DEP_2) | instskip(SKIP_1) | instid1(VALU_DEP_3)
	v_add_f64 v[20:21], v[32:33], v[20:21]
	v_mul_f64 v[32:33], v[108:109], s[38:39]
	v_add_f64 v[34:35], v[198:199], v[34:35]
	v_mul_f64 v[198:199], v[118:119], s[30:31]
	s_delay_alu instid0(VALU_DEP_4) | instskip(NEXT) | instid1(VALU_DEP_4)
	v_add_f64 v[20:21], v[58:59], v[20:21]
	v_add_f64 v[32:33], v[32:33], -v[196:197]
	v_mul_f64 v[58:59], v[118:119], s[38:39]
	v_mul_f64 v[196:197], v[106:107], s[26:27]
	s_delay_alu instid0(VALU_DEP_4) | instskip(NEXT) | instid1(VALU_DEP_4)
	v_add_f64 v[20:21], v[70:71], v[20:21]
	v_add_f64 v[32:33], v[32:33], v[22:23]
	s_delay_alu instid0(VALU_DEP_4) | instskip(SKIP_4) | instid1(VALU_DEP_4)
	v_add_f64 v[58:59], v[156:157], v[58:59]
	v_mul_f64 v[70:71], v[122:123], s[40:41]
	v_mul_f64 v[156:157], v[90:91], s[24:25]
	v_add_f64 v[20:21], v[34:35], v[20:21]
	v_mul_f64 v[34:35], v[100:101], s[22:23]
	v_add_f64 v[70:71], v[170:171], v[70:71]
	v_mul_f64 v[170:171], v[110:111], s[6:7]
	s_delay_alu instid0(VALU_DEP_4)
	v_add_f64 v[22:23], v[38:39], v[20:21]
	v_add_f64 v[20:21], v[36:37], v[32:33]
	v_mul_f64 v[36:37], v[94:95], s[16:17]
	v_mul_f64 v[32:33], v[110:111], s[30:31]
	v_add_f64 v[34:35], v[142:143], v[34:35]
	v_mul_f64 v[38:39], v[86:87], s[30:31]
	v_mul_f64 v[142:143], v[114:115], s[56:57]
	v_add_f64 v[36:37], v[130:131], v[36:37]
	v_add_f64 v[32:33], v[150:151], v[32:33]
	v_mul_f64 v[130:131], v[96:97], s[54:55]
	v_add_f64 v[38:39], v[38:39], -v[146:147]
	v_mul_f64 v[146:147], v[120:121], s[0:1]
	v_mul_f64 v[150:151], v[124:125], s[20:21]
	v_add_f64 v[24:25], v[36:37], v[24:25]
	v_mul_f64 v[36:37], v[102:103], s[40:41]
	v_add_f64 v[26:27], v[38:39], v[26:27]
	v_mul_f64 v[38:39], v[134:135], s[6:7]
	s_delay_alu instid0(VALU_DEP_4) | instskip(NEXT) | instid1(VALU_DEP_4)
	v_add_f64 v[24:25], v[34:35], v[24:25]
	v_add_f64 v[36:37], v[36:37], -v[164:165]
	v_mul_f64 v[34:35], v[128:129], s[28:29]
	v_add_f64 v[26:27], v[60:61], v[26:27]
	v_add_f64 v[38:39], v[194:195], v[38:39]
	v_mul_f64 v[60:61], v[94:95], s[30:31]
	v_mul_f64 v[164:165], v[96:97], s[48:49]
	;; [unrolled: 1-line block ×3, first 2 shown]
	v_add_f64 v[24:25], v[32:33], v[24:25]
	v_mul_f64 v[32:33], v[108:109], s[28:29]
	v_add_f64 v[34:35], v[180:181], v[34:35]
	v_add_f64 v[26:27], v[36:37], v[26:27]
	v_mul_f64 v[36:37], v[116:117], s[6:7]
	v_mul_f64 v[180:181], v[120:121], s[46:47]
	v_add_f64 v[24:25], v[58:59], v[24:25]
	v_add_f64 v[32:33], v[32:33], -v[178:179]
	v_mul_f64 v[178:179], v[122:123], s[38:39]
	v_mul_f64 v[58:59], v[90:91], s[36:37]
	v_add_f64 v[36:37], v[36:37], -v[190:191]
	v_mul_f64 v[190:191], v[132:133], s[56:57]
	v_mul_f64 v[132:133], v[132:133], s[42:43]
	v_add_f64 v[24:25], v[70:71], v[24:25]
	v_add_f64 v[32:33], v[32:33], v[26:27]
	v_mul_f64 v[70:71], v[94:95], s[22:23]
	s_delay_alu instid0(VALU_DEP_3) | instskip(SKIP_1) | instid1(VALU_DEP_2)
	v_add_f64 v[24:25], v[34:35], v[24:25]
	v_fma_f64 v[34:35], v[78:79], s[30:31], -v[156:157]
	v_add_f64 v[26:27], v[38:39], v[24:25]
	v_add_f64 v[24:25], v[36:37], v[32:33]
	v_fma_f64 v[32:33], v[76:77], s[18:19], v[70:71]
	v_fma_f64 v[36:37], v[80:81], s[48:49], v[158:159]
	v_add_f64 v[34:35], v[34:35], v[54:55]
	v_fma_f64 v[38:39], v[78:79], s[38:39], -v[58:59]
	v_mul_f64 v[54:55], v[90:91], s[48:49]
	v_fma_f64 v[58:59], v[78:79], s[38:39], v[58:59]
	v_add_f64 v[28:29], v[32:33], v[28:29]
	v_fma_f64 v[32:33], v[78:79], s[22:23], -v[72:73]
	v_add_f64 v[38:39], v[38:39], v[52:53]
	v_mul_f64 v[52:53], v[94:95], s[40:41]
	v_fma_f64 v[90:91], v[78:79], s[40:41], -v[54:55]
	v_fma_f64 v[54:55], v[78:79], s[40:41], v[54:55]
	v_add_f64 v[58:59], v[58:59], v[64:65]
	v_fma_f64 v[64:65], v[116:117], s[22:23], v[212:213]
	v_add_f64 v[30:31], v[32:33], v[30:31]
	;; [unrolled: 2-line block ×3, first 2 shown]
	v_mul_f64 v[90:91], v[100:101], s[6:7]
	v_add_f64 v[54:55], v[54:55], v[62:63]
	s_delay_alu instid0(VALU_DEP_4) | instskip(SKIP_1) | instid1(VALU_DEP_4)
	v_add_f64 v[28:29], v[32:33], v[28:29]
	v_fma_f64 v[32:33], v[82:83], s[30:31], -v[130:131]
	v_fma_f64 v[94:95], v[80:81], s[0:1], v[90:91]
	v_fma_f64 v[62:63], v[80:81], s[44:45], v[90:91]
	s_delay_alu instid0(VALU_DEP_3) | instskip(SKIP_1) | instid1(VALU_DEP_1)
	v_add_f64 v[30:31], v[32:33], v[30:31]
	v_fma_f64 v[32:33], v[84:85], s[48:49], v[136:137]
	v_add_f64 v[28:29], v[32:33], v[28:29]
	v_fma_f64 v[32:33], v[86:87], s[40:41], -v[138:139]
	s_delay_alu instid0(VALU_DEP_1) | instskip(SKIP_1) | instid1(VALU_DEP_1)
	v_add_f64 v[30:31], v[32:33], v[30:31]
	v_fma_f64 v[32:33], v[88:89], s[56:57], v[140:141]
	v_add_f64 v[28:29], v[32:33], v[28:29]
	v_fma_f64 v[32:33], v[92:93], s[10:11], -v[142:143]
	s_delay_alu instid0(VALU_DEP_1) | instskip(SKIP_1) | instid1(VALU_DEP_1)
	;; [unrolled: 5-line block ×4, first 2 shown]
	v_add_f64 v[32:33], v[32:33], v[30:31]
	v_fma_f64 v[30:31], v[112:113], s[46:47], v[152:153]
	v_add_f64 v[30:31], v[30:31], v[28:29]
	v_fma_f64 v[28:29], v[116:117], s[38:39], -v[154:155]
	s_delay_alu instid0(VALU_DEP_1) | instskip(SKIP_2) | instid1(VALU_DEP_2)
	v_add_f64 v[28:29], v[28:29], v[32:33]
	v_fma_f64 v[32:33], v[76:77], s[24:25], v[60:61]
	v_fma_f64 v[60:61], v[76:77], s[54:55], v[60:61]
	v_add_f64 v[32:33], v[32:33], v[176:177]
	v_mul_f64 v[176:177], v[114:115], s[26:27]
	s_delay_alu instid0(VALU_DEP_3) | instskip(NEXT) | instid1(VALU_DEP_3)
	v_add_f64 v[60:61], v[60:61], v[168:169]
	v_add_f64 v[32:33], v[36:37], v[32:33]
	v_fma_f64 v[36:37], v[82:83], s[40:41], -v[164:165]
	s_delay_alu instid0(VALU_DEP_1) | instskip(SKIP_1) | instid1(VALU_DEP_1)
	v_add_f64 v[34:35], v[36:37], v[34:35]
	v_fma_f64 v[36:37], v[84:85], s[44:45], v[170:171]
	v_add_f64 v[32:33], v[36:37], v[32:33]
	v_fma_f64 v[36:37], v[86:87], s[6:7], -v[172:173]
	s_delay_alu instid0(VALU_DEP_1) | instskip(SKIP_1) | instid1(VALU_DEP_1)
	v_add_f64 v[34:35], v[36:37], v[34:35]
	v_fma_f64 v[36:37], v[88:89], s[26:27], v[174:175]
	;; [unrolled: 5-line block ×5, first 2 shown]
	v_add_f64 v[34:35], v[34:35], v[32:33]
	v_fma_f64 v[32:33], v[116:117], s[10:11], -v[190:191]
	s_delay_alu instid0(VALU_DEP_1) | instskip(SKIP_2) | instid1(VALU_DEP_2)
	v_add_f64 v[32:33], v[32:33], v[36:37]
	v_fma_f64 v[36:37], v[76:77], s[36:37], v[56:57]
	v_fma_f64 v[56:57], v[76:77], s[46:47], v[56:57]
	v_add_f64 v[36:37], v[36:37], v[166:167]
	v_mul_f64 v[166:167], v[100:101], s[10:11]
	s_delay_alu instid0(VALU_DEP_3) | instskip(NEXT) | instid1(VALU_DEP_2)
	v_add_f64 v[56:57], v[56:57], v[162:163]
	v_fma_f64 v[48:49], v[80:81], s[56:57], v[166:167]
	s_delay_alu instid0(VALU_DEP_1) | instskip(SKIP_1) | instid1(VALU_DEP_1)
	v_add_f64 v[36:37], v[48:49], v[36:37]
	v_fma_f64 v[48:49], v[82:83], s[10:11], -v[192:193]
	v_add_f64 v[38:39], v[48:49], v[38:39]
	v_fma_f64 v[48:49], v[84:85], s[26:27], v[194:195]
	s_delay_alu instid0(VALU_DEP_1) | instskip(SKIP_1) | instid1(VALU_DEP_1)
	v_add_f64 v[36:37], v[48:49], v[36:37]
	v_fma_f64 v[48:49], v[86:87], s[28:29], -v[196:197]
	;; [unrolled: 5-line block ×6, first 2 shown]
	v_add_f64 v[36:37], v[36:37], v[48:49]
	v_fma_f64 v[48:49], v[76:77], s[48:49], v[52:53]
	v_fma_f64 v[52:53], v[76:77], s[34:35], v[52:53]
	s_delay_alu instid0(VALU_DEP_2) | instskip(NEXT) | instid1(VALU_DEP_2)
	v_add_f64 v[48:49], v[48:49], v[160:161]
	v_add_f64 v[52:53], v[52:53], v[74:75]
	v_fma_f64 v[74:75], v[116:117], s[28:29], v[132:133]
	s_delay_alu instid0(VALU_DEP_3) | instskip(SKIP_1) | instid1(VALU_DEP_4)
	v_add_f64 v[48:49], v[94:95], v[48:49]
	v_mul_f64 v[94:95], v[96:97], s[0:1]
	v_add_f64 v[52:53], v[62:63], v[52:53]
	s_delay_alu instid0(VALU_DEP_2) | instskip(SKIP_1) | instid1(VALU_DEP_2)
	v_fma_f64 v[96:97], v[82:83], s[6:7], -v[94:95]
	v_fma_f64 v[62:63], v[82:83], s[6:7], v[94:95]
	v_add_f64 v[50:51], v[96:97], v[50:51]
	v_mul_f64 v[96:97], v[110:111], s[38:39]
	s_delay_alu instid0(VALU_DEP_3) | instskip(NEXT) | instid1(VALU_DEP_2)
	v_add_f64 v[54:55], v[62:63], v[54:55]
	v_fma_f64 v[100:101], v[84:85], s[46:47], v[96:97]
	v_fma_f64 v[62:63], v[84:85], s[36:37], v[96:97]
	s_delay_alu instid0(VALU_DEP_2) | instskip(SKIP_1) | instid1(VALU_DEP_3)
	v_add_f64 v[48:49], v[100:101], v[48:49]
	v_mul_f64 v[100:101], v[106:107], s[46:47]
	v_add_f64 v[52:53], v[62:63], v[52:53]
	s_delay_alu instid0(VALU_DEP_2) | instskip(SKIP_1) | instid1(VALU_DEP_2)
	v_fma_f64 v[106:107], v[86:87], s[38:39], -v[100:101]
	v_fma_f64 v[62:63], v[86:87], s[38:39], v[100:101]
	v_add_f64 v[50:51], v[106:107], v[50:51]
	v_mul_f64 v[106:107], v[118:119], s[16:17]
	s_delay_alu instid0(VALU_DEP_3) | instskip(NEXT) | instid1(VALU_DEP_2)
	v_add_f64 v[54:55], v[62:63], v[54:55]
	v_fma_f64 v[110:111], v[88:89], s[50:51], v[106:107]
	v_fma_f64 v[62:63], v[88:89], s[20:21], v[106:107]
	s_delay_alu instid0(VALU_DEP_2) | instskip(SKIP_1) | instid1(VALU_DEP_3)
	;; [unrolled: 13-line block ×3, first 2 shown]
	v_add_f64 v[48:49], v[118:119], v[48:49]
	v_mul_f64 v[118:119], v[120:121], s[8:9]
	v_add_f64 v[52:53], v[62:63], v[52:53]
	s_delay_alu instid0(VALU_DEP_2) | instskip(SKIP_1) | instid1(VALU_DEP_2)
	v_fma_f64 v[120:121], v[102:103], s[10:11], -v[118:119]
	v_fma_f64 v[62:63], v[102:103], s[10:11], v[118:119]
	v_add_f64 v[50:51], v[120:121], v[50:51]
	v_mul_f64 v[120:121], v[128:129], s[30:31]
	s_delay_alu instid0(VALU_DEP_3) | instskip(SKIP_1) | instid1(VALU_DEP_3)
	v_add_f64 v[54:55], v[62:63], v[54:55]
	v_mul_f64 v[128:129], v[134:135], s[28:29]
	v_fma_f64 v[122:123], v[104:105], s[24:25], v[120:121]
	v_fma_f64 v[62:63], v[104:105], s[54:55], v[120:121]
	s_delay_alu instid0(VALU_DEP_2) | instskip(SKIP_1) | instid1(VALU_DEP_3)
	v_add_f64 v[48:49], v[122:123], v[48:49]
	v_mul_f64 v[122:123], v[124:125], s[24:25]
	v_add_f64 v[52:53], v[62:63], v[52:53]
	s_delay_alu instid0(VALU_DEP_2) | instskip(SKIP_1) | instid1(VALU_DEP_2)
	v_fma_f64 v[62:63], v[108:109], s[30:31], v[122:123]
	v_fma_f64 v[124:125], v[108:109], s[30:31], -v[122:123]
	v_add_f64 v[62:63], v[62:63], v[54:55]
	v_fma_f64 v[54:55], v[112:113], s[26:27], v[128:129]
	s_delay_alu instid0(VALU_DEP_3) | instskip(SKIP_1) | instid1(VALU_DEP_3)
	v_add_f64 v[124:125], v[124:125], v[50:51]
	v_fma_f64 v[50:51], v[112:113], s[42:43], v[128:129]
	v_add_f64 v[54:55], v[54:55], v[52:53]
	v_add_f64 v[52:53], v[74:75], v[62:63]
	v_fma_f64 v[62:63], v[80:81], s[8:9], v[166:167]
	s_delay_alu instid0(VALU_DEP_4) | instskip(SKIP_1) | instid1(VALU_DEP_3)
	v_add_f64 v[50:51], v[50:51], v[48:49]
	v_fma_f64 v[48:49], v[116:117], s[28:29], -v[132:133]
	v_add_f64 v[56:57], v[62:63], v[56:57]
	v_fma_f64 v[62:63], v[82:83], s[10:11], v[192:193]
	s_delay_alu instid0(VALU_DEP_3) | instskip(NEXT) | instid1(VALU_DEP_2)
	v_add_f64 v[48:49], v[48:49], v[124:125]
	v_add_f64 v[58:59], v[62:63], v[58:59]
	v_fma_f64 v[62:63], v[84:85], s[42:43], v[194:195]
	s_delay_alu instid0(VALU_DEP_1) | instskip(SKIP_1) | instid1(VALU_DEP_1)
	v_add_f64 v[56:57], v[62:63], v[56:57]
	v_fma_f64 v[62:63], v[86:87], s[28:29], v[196:197]
	v_add_f64 v[58:59], v[62:63], v[58:59]
	v_fma_f64 v[62:63], v[88:89], s[54:55], v[198:199]
	s_delay_alu instid0(VALU_DEP_1) | instskip(SKIP_1) | instid1(VALU_DEP_1)
	v_add_f64 v[56:57], v[62:63], v[56:57]
	v_fma_f64 v[62:63], v[92:93], s[30:31], v[200:201]
	;; [unrolled: 5-line block ×4, first 2 shown]
	v_add_f64 v[62:63], v[62:63], v[58:59]
	v_fma_f64 v[58:59], v[112:113], s[52:53], v[210:211]
	s_delay_alu instid0(VALU_DEP_1) | instskip(NEXT) | instid1(VALU_DEP_3)
	v_add_f64 v[58:59], v[58:59], v[56:57]
	v_add_f64 v[56:57], v[64:65], v[62:63]
	v_fma_f64 v[62:63], v[78:79], s[30:31], v[156:157]
	v_fma_f64 v[64:65], v[80:81], s[34:35], v[158:159]
	s_delay_alu instid0(VALU_DEP_2) | instskip(NEXT) | instid1(VALU_DEP_2)
	v_add_f64 v[62:63], v[62:63], v[66:67]
	v_add_f64 v[60:61], v[64:65], v[60:61]
	v_fma_f64 v[64:65], v[82:83], s[40:41], v[164:165]
	v_fma_f64 v[66:67], v[116:117], s[10:11], v[190:191]
	s_delay_alu instid0(VALU_DEP_2) | instskip(SKIP_1) | instid1(VALU_DEP_1)
	v_add_f64 v[62:63], v[64:65], v[62:63]
	v_fma_f64 v[64:65], v[84:85], s[0:1], v[170:171]
	v_add_f64 v[60:61], v[64:65], v[60:61]
	v_fma_f64 v[64:65], v[86:87], s[6:7], v[172:173]
	s_delay_alu instid0(VALU_DEP_1) | instskip(SKIP_1) | instid1(VALU_DEP_1)
	v_add_f64 v[62:63], v[64:65], v[62:63]
	v_fma_f64 v[64:65], v[88:89], s[42:43], v[174:175]
	v_add_f64 v[60:61], v[64:65], v[60:61]
	v_fma_f64 v[64:65], v[92:93], s[28:29], v[176:177]
	s_delay_alu instid0(VALU_DEP_1) | instskip(SKIP_1) | instid1(VALU_DEP_1)
	;; [unrolled: 5-line block ×4, first 2 shown]
	v_add_f64 v[64:65], v[64:65], v[62:63]
	v_fma_f64 v[62:63], v[112:113], s[8:9], v[188:189]
	v_add_f64 v[62:63], v[62:63], v[60:61]
	s_delay_alu instid0(VALU_DEP_3) | instskip(SKIP_4) | instid1(VALU_DEP_4)
	v_add_f64 v[60:61], v[66:67], v[64:65]
	v_fma_f64 v[64:65], v[76:77], s[52:53], v[70:71]
	v_fma_f64 v[66:67], v[78:79], s[22:23], v[72:73]
	;; [unrolled: 1-line block ×4, first 2 shown]
	v_add_f64 v[64:65], v[64:65], v[184:185]
	s_delay_alu instid0(VALU_DEP_4) | instskip(SKIP_1) | instid1(VALU_DEP_3)
	v_add_f64 v[66:67], v[66:67], v[68:69]
	v_fma_f64 v[68:69], v[84:85], s[34:35], v[136:137]
	v_add_f64 v[64:65], v[70:71], v[64:65]
	v_fma_f64 v[70:71], v[86:87], s[40:41], v[138:139]
	s_delay_alu instid0(VALU_DEP_4) | instskip(SKIP_1) | instid1(VALU_DEP_4)
	v_add_f64 v[66:67], v[72:73], v[66:67]
	v_fma_f64 v[72:73], v[88:89], s[8:9], v[140:141]
	v_add_f64 v[64:65], v[68:69], v[64:65]
	v_fma_f64 v[68:69], v[92:93], s[10:11], v[142:143]
	s_delay_alu instid0(VALU_DEP_4) | instskip(SKIP_1) | instid1(VALU_DEP_4)
	;; [unrolled: 5-line block ×4, first 2 shown]
	v_add_f64 v[66:67], v[72:73], v[66:67]
	v_fma_f64 v[72:73], v[112:113], s[36:37], v[152:153]
	v_add_f64 v[64:65], v[68:69], v[64:65]
	v_fma_f64 v[68:69], v[116:117], s[38:39], v[154:155]
	s_delay_alu instid0(VALU_DEP_4) | instskip(NEXT) | instid1(VALU_DEP_3)
	v_add_f64 v[70:71], v[70:71], v[66:67]
	v_add_f64 v[66:67], v[72:73], v[64:65]
	s_delay_alu instid0(VALU_DEP_2) | instskip(SKIP_1) | instid1(VALU_DEP_1)
	v_add_f64 v[64:65], v[68:69], v[70:71]
	v_mul_lo_u16 v68, v224, 17
	v_and_b32_e32 v68, 0xffff, v68
	s_delay_alu instid0(VALU_DEP_1)
	v_lshlrev_b32_e32 v68, 4, v68
	ds_store_b128 v68, v[4:7]
	ds_store_b128 v68, v[20:23] offset:16
	ds_store_b128 v68, v[24:27] offset:32
	;; [unrolled: 1-line block ×16, first 2 shown]
.LBB0_7:
	s_or_b32 exec_lo, exec_lo, s33
	v_and_b32_e32 v7, 0xff, v224
	v_add_nc_u16 v4, v224, 0x77
	s_load_b128 s[4:7], s[4:5], 0x0
	s_waitcnt lgkmcnt(0)
	s_barrier
	v_mul_lo_u16 v0, 0xf1, v7
	buffer_gl0_inv
	v_and_b32_e32 v5, 0xff, v4
	v_add_co_u32 v20, null, 0xee, v224
	v_lshrrev_b16 v8, 12, v0
	s_mov_b32 s0, 0xe8584caa
	s_mov_b32 s1, 0x3febb67a
	s_delay_alu instid0(VALU_DEP_2)
	v_and_b32_e32 v6, 0xffff, v20
	s_mov_b32 s9, 0xbfebb67a
	v_mul_lo_u16 v0, v8, 17
	s_mov_b32 s8, s0
	v_and_b32_e32 v8, 0xffff, v8
	s_mov_b32 s10, 0x134454ff
	s_mov_b32 s11, 0x3fee6f0e
	v_sub_nc_u16 v0, v224, v0
	s_mov_b32 s17, 0xbfee6f0e
	v_mul_u32_u24_e32 v8, 51, v8
	s_mov_b32 s16, s10
	s_mov_b32 s18, 0x372fe950
	v_and_b32_e32 v9, 0xff, v0
	s_mov_b32 s19, 0x3fd3c6ef
                                        ; implicit-def: $vgpr172_vgpr173
                                        ; implicit-def: $vgpr176_vgpr177
	s_delay_alu instid0(VALU_DEP_1)
	v_lshlrev_b32_e32 v0, 5, v9
	v_add_lshl_u32 v8, v8, v9, 4
	s_clause 0x1
	global_load_b128 v[99:102], v0, s[2:3]
	global_load_b128 v[95:98], v0, s[2:3] offset:16
	v_mul_lo_u16 v0, 0xf1, v5
	s_delay_alu instid0(VALU_DEP_1) | instskip(NEXT) | instid1(VALU_DEP_1)
	v_lshrrev_b16 v10, 12, v0
	v_mul_lo_u16 v0, v10, 17
	s_delay_alu instid0(VALU_DEP_1) | instskip(NEXT) | instid1(VALU_DEP_1)
	v_sub_nc_u16 v0, v4, v0
	v_and_b32_e32 v11, 0xff, v0
	s_delay_alu instid0(VALU_DEP_1) | instskip(SKIP_4) | instid1(VALU_DEP_1)
	v_lshlrev_b32_e32 v0, 5, v11
	s_clause 0x1
	global_load_b128 v[103:106], v0, s[2:3]
	global_load_b128 v[107:110], v0, s[2:3] offset:16
	v_mul_u32_u24_e32 v0, 0xf0f1, v6
	v_lshrrev_b32_e32 v12, 20, v0
	s_delay_alu instid0(VALU_DEP_1) | instskip(NEXT) | instid1(VALU_DEP_1)
	v_mul_lo_u16 v0, v12, 17
	v_sub_nc_u16 v13, v20, v0
	s_delay_alu instid0(VALU_DEP_1) | instskip(NEXT) | instid1(VALU_DEP_1)
	v_lshlrev_b16 v0, 1, v13
	v_and_b32_e32 v0, 0xffff, v0
	s_delay_alu instid0(VALU_DEP_1) | instskip(SKIP_4) | instid1(VALU_DEP_1)
	v_lshlrev_b32_e32 v0, 4, v0
	s_clause 0x1
	global_load_b128 v[60:63], v0, s[2:3]
	global_load_b128 v[56:59], v0, s[2:3] offset:16
	v_and_b32_e32 v0, 0xffff, v224
	v_lshlrev_b32_e32 v252, 4, v0
	ds_load_b128 v[16:19], v252 offset:9520
	ds_load_b128 v[0:3], v252 offset:19040
	;; [unrolled: 1-line block ×5, first 2 shown]
	s_waitcnt vmcnt(5) lgkmcnt(4)
	v_mul_f64 v[14:15], v[18:19], v[101:102]
	s_waitcnt vmcnt(4) lgkmcnt(3)
	v_mul_f64 v[23:24], v[2:3], v[97:98]
	v_mul_f64 v[21:22], v[16:17], v[101:102]
	;; [unrolled: 1-line block ×3, first 2 shown]
	s_delay_alu instid0(VALU_DEP_4)
	v_fma_f64 v[27:28], v[16:17], v[99:100], -v[14:15]
	ds_load_b128 v[14:17], v252 offset:13328
	v_fma_f64 v[23:24], v[0:1], v[95:96], -v[23:24]
	s_waitcnt vmcnt(3) lgkmcnt(2)
	v_mul_f64 v[0:1], v[48:49], v[105:106]
	v_fma_f64 v[18:19], v[18:19], v[99:100], v[21:22]
	v_mul_f64 v[21:22], v[50:51], v[105:106]
	v_fma_f64 v[25:26], v[2:3], v[95:96], v[25:26]
	s_waitcnt vmcnt(2) lgkmcnt(1)
	v_mul_f64 v[2:3], v[38:39], v[109:110]
	s_waitcnt vmcnt(1)
	scratch_store_b128 off, v[60:63], off offset:60 ; 16-byte Folded Spill
	v_fma_f64 v[29:30], v[50:51], v[103:104], v[0:1]
	v_mul_f64 v[0:1], v[36:37], v[109:110]
	v_fma_f64 v[21:22], v[48:49], v[103:104], -v[21:22]
	s_waitcnt lgkmcnt(0)
	v_mul_f64 v[48:49], v[16:17], v[62:63]
	v_fma_f64 v[52:53], v[36:37], v[107:108], -v[2:3]
	s_delay_alu instid0(VALU_DEP_4) | instskip(SKIP_1) | instid1(VALU_DEP_4)
	v_fma_f64 v[54:55], v[38:39], v[107:108], v[0:1]
	v_mul_f64 v[0:1], v[14:15], v[62:63]
	v_fma_f64 v[68:69], v[14:15], v[60:61], -v[48:49]
	s_delay_alu instid0(VALU_DEP_2)
	v_fma_f64 v[70:71], v[16:17], v[60:61], v[0:1]
	ds_load_b128 v[0:3], v252 offset:22848
	ds_load_b128 v[14:17], v252 offset:24752
	s_waitcnt vmcnt(0)
	scratch_store_b128 off, v[56:59], off offset:44 ; 16-byte Folded Spill
	s_waitcnt lgkmcnt(1)
	v_mul_f64 v[36:37], v[2:3], v[58:59]
	s_delay_alu instid0(VALU_DEP_1) | instskip(SKIP_1) | instid1(VALU_DEP_1)
	v_fma_f64 v[72:73], v[0:1], v[56:57], -v[36:37]
	v_mul_f64 v[0:1], v[0:1], v[58:59]
	v_fma_f64 v[74:75], v[2:3], v[56:57], v[0:1]
	v_add_co_u32 v0, null, 0x165, v224
	s_delay_alu instid0(VALU_DEP_1) | instskip(NEXT) | instid1(VALU_DEP_1)
	v_and_b32_e32 v1, 0xffff, v0
	v_mul_u32_u24_e32 v1, 0xf0f1, v1
	s_delay_alu instid0(VALU_DEP_1) | instskip(NEXT) | instid1(VALU_DEP_1)
	v_lshrrev_b32_e32 v31, 20, v1
	v_mul_lo_u16 v1, v31, 17
	s_delay_alu instid0(VALU_DEP_1) | instskip(NEXT) | instid1(VALU_DEP_1)
	v_sub_nc_u16 v92, v0, v1
	v_lshlrev_b16 v0, 1, v92
	s_delay_alu instid0(VALU_DEP_1) | instskip(NEXT) | instid1(VALU_DEP_1)
	v_and_b32_e32 v0, 0xffff, v0
	v_lshlrev_b32_e32 v0, 4, v0
	s_clause 0x1
	global_load_b128 v[60:63], v0, s[2:3]
	global_load_b128 v[56:59], v0, s[2:3] offset:16
	ds_load_b128 v[0:3], v252 offset:15232
	ds_load_b128 v[36:39], v252 offset:17136
	s_waitcnt vmcnt(1) lgkmcnt(1)
	v_mul_f64 v[48:49], v[2:3], v[62:63]
	scratch_store_b128 off, v[60:63], off offset:196 ; 16-byte Folded Spill
	s_waitcnt vmcnt(0)
	scratch_store_b128 off, v[56:59], off offset:180 ; 16-byte Folded Spill
	v_fma_f64 v[76:77], v[0:1], v[60:61], -v[48:49]
	v_mul_f64 v[0:1], v[0:1], v[62:63]
	s_delay_alu instid0(VALU_DEP_1) | instskip(SKIP_1) | instid1(VALU_DEP_1)
	v_fma_f64 v[78:79], v[2:3], v[60:61], v[0:1]
	v_mul_f64 v[0:1], v[16:17], v[58:59]
	v_fma_f64 v[80:81], v[14:15], v[56:57], -v[0:1]
	v_mul_f64 v[0:1], v[14:15], v[58:59]
	s_delay_alu instid0(VALU_DEP_1) | instskip(SKIP_1) | instid1(VALU_DEP_1)
	v_fma_f64 v[82:83], v[16:17], v[56:57], v[0:1]
	v_add_co_u32 v0, null, 0x1dc, v224
	v_and_b32_e32 v1, 0xffff, v0
	s_delay_alu instid0(VALU_DEP_1) | instskip(NEXT) | instid1(VALU_DEP_1)
	v_mul_u32_u24_e32 v1, 0xf0f1, v1
	v_lshrrev_b32_e32 v93, 20, v1
	s_delay_alu instid0(VALU_DEP_1) | instskip(NEXT) | instid1(VALU_DEP_1)
	v_mul_lo_u16 v1, v93, 17
	v_sub_nc_u16 v94, v0, v1
	s_delay_alu instid0(VALU_DEP_1) | instskip(NEXT) | instid1(VALU_DEP_1)
	v_lshlrev_b16 v0, 1, v94
	v_and_b32_e32 v0, 0xffff, v0
	s_delay_alu instid0(VALU_DEP_1)
	v_lshlrev_b32_e32 v0, 4, v0
	s_clause 0x1
	global_load_b128 v[14:17], v0, s[2:3]
	global_load_b128 v[48:51], v0, s[2:3] offset:16
	s_waitcnt vmcnt(1) lgkmcnt(0)
	v_mul_f64 v[0:1], v[38:39], v[16:17]
	scratch_store_b128 off, v[14:17], off offset:228 ; 16-byte Folded Spill
	s_waitcnt vmcnt(0)
	scratch_store_b128 off, v[48:51], off offset:212 ; 16-byte Folded Spill
	v_fma_f64 v[84:85], v[36:37], v[14:15], -v[0:1]
	v_mul_f64 v[0:1], v[36:37], v[16:17]
	v_add_f64 v[36:37], v[27:28], v[23:24]
	s_delay_alu instid0(VALU_DEP_2) | instskip(SKIP_3) | instid1(VALU_DEP_1)
	v_fma_f64 v[86:87], v[38:39], v[14:15], v[0:1]
	ds_load_b128 v[0:3], v252 offset:26656
	s_waitcnt lgkmcnt(0)
	v_mul_f64 v[14:15], v[2:3], v[50:51]
	v_fma_f64 v[88:89], v[0:1], v[48:49], -v[14:15]
	v_mul_f64 v[0:1], v[0:1], v[50:51]
	s_delay_alu instid0(VALU_DEP_1)
	v_fma_f64 v[90:91], v[2:3], v[48:49], v[0:1]
	ds_load_b128 v[0:3], v252
	ds_load_b128 v[14:17], v252 offset:1904
	ds_load_b128 v[60:63], v252 offset:3808
	;; [unrolled: 1-line block ×3, first 2 shown]
	s_waitcnt lgkmcnt(0)
	s_waitcnt_vscnt null, 0x0
	s_barrier
	buffer_gl0_inv
	v_fma_f64 v[38:39], v[36:37], -0.5, v[0:1]
	v_add_f64 v[36:37], v[18:19], v[25:26]
	v_add_f64 v[0:1], v[0:1], v[27:28]
	s_delay_alu instid0(VALU_DEP_2) | instskip(SKIP_2) | instid1(VALU_DEP_4)
	v_fma_f64 v[50:51], v[36:37], -0.5, v[2:3]
	v_add_f64 v[2:3], v[2:3], v[18:19]
	v_add_f64 v[18:19], v[18:19], -v[25:26]
	v_add_f64 v[0:1], v[0:1], v[23:24]
	v_add_f64 v[23:24], v[27:28], -v[23:24]
	v_add_f64 v[27:28], v[70:71], -v[74:75]
	v_add_f64 v[2:3], v[2:3], v[25:26]
	v_fma_f64 v[36:37], v[18:19], s[0:1], v[38:39]
	v_fma_f64 v[48:49], v[18:19], s[8:9], v[38:39]
	;; [unrolled: 1-line block ×4, first 2 shown]
	v_add_f64 v[18:19], v[21:22], v[52:53]
	v_add_f64 v[23:24], v[29:30], v[54:55]
	v_add_f64 v[25:26], v[29:30], -v[54:55]
	ds_store_b128 v8, v[0:3]
	ds_store_b128 v8, v[36:39] offset:272
	v_and_b32_e32 v0, 0xffff, v10
	scratch_store_b32 off, v8, off offset:252 ; 4-byte Folded Spill
	v_fma_f64 v[18:19], v[18:19], -0.5, v[14:15]
	v_fma_f64 v[23:24], v[23:24], -0.5, v[16:17]
	v_add_f64 v[16:17], v[16:17], v[29:30]
	v_add_f64 v[14:15], v[14:15], v[21:22]
	v_add_f64 v[21:22], v[21:22], -v[52:53]
	v_mul_u32_u24_e32 v0, 51, v0
	ds_store_b128 v8, v[48:51] offset:544
	v_mad_u16 v2, v93, 51, v94
	v_add_lshl_u32 v0, v0, v11, 4
	s_delay_alu instid0(VALU_DEP_2) | instskip(NEXT) | instid1(VALU_DEP_1)
	v_and_b32_e32 v2, 0xffff, v2
	v_lshlrev_b32_e32 v94, 4, v2
	v_fma_f64 v[56:57], v[25:26], s[8:9], v[18:19]
	v_add_f64 v[16:17], v[16:17], v[54:55]
	v_add_f64 v[14:15], v[14:15], v[52:53]
	v_fma_f64 v[52:53], v[25:26], s[0:1], v[18:19]
	v_fma_f64 v[54:55], v[21:22], s[8:9], v[23:24]
	;; [unrolled: 1-line block ×3, first 2 shown]
	v_add_f64 v[18:19], v[68:69], v[72:73]
	v_add_f64 v[21:22], v[70:71], v[74:75]
	;; [unrolled: 1-line block ×4, first 2 shown]
	ds_store_b128 v0, v[14:17]
	ds_store_b128 v0, v[52:55] offset:272
	scratch_store_b32 off, v0, off offset:248 ; 4-byte Folded Spill
	ds_store_b128 v0, v[56:59] offset:544
	v_fma_f64 v[18:19], v[18:19], -0.5, v[60:61]
	v_fma_f64 v[21:22], v[21:22], -0.5, v[62:63]
	v_add_f64 v[62:63], v[23:24], v[74:75]
	v_add_f64 v[23:24], v[68:69], -v[72:73]
	v_add_f64 v[60:61], v[25:26], v[72:73]
	v_add_f64 v[25:26], v[64:65], v[76:77]
	v_mad_u16 v0, v12, 51, v13
	s_delay_alu instid0(VALU_DEP_1) | instskip(NEXT) | instid1(VALU_DEP_1)
	v_and_b32_e32 v0, 0xffff, v0
	v_lshlrev_b32_e32 v0, 4, v0
	v_fma_f64 v[68:69], v[27:28], s[0:1], v[18:19]
	v_fma_f64 v[72:73], v[27:28], s[8:9], v[18:19]
	v_add_f64 v[18:19], v[76:77], v[80:81]
	v_fma_f64 v[70:71], v[23:24], s[8:9], v[21:22]
	v_fma_f64 v[74:75], v[23:24], s[0:1], v[21:22]
	v_add_f64 v[21:22], v[78:79], v[82:83]
	v_add_f64 v[23:24], v[66:67], v[78:79]
	v_add_f64 v[27:28], v[78:79], -v[82:83]
	ds_store_b128 v0, v[60:63]
	ds_store_b128 v0, v[68:71] offset:272
	v_fma_f64 v[18:19], v[18:19], -0.5, v[64:65]
	v_add_f64 v[64:65], v[25:26], v[80:81]
	v_fma_f64 v[21:22], v[21:22], -0.5, v[66:67]
	v_add_f64 v[66:67], v[23:24], v[82:83]
	v_add_f64 v[23:24], v[76:77], -v[80:81]
	v_add_f64 v[25:26], v[32:33], v[84:85]
	scratch_store_b32 off, v0, off offset:244 ; 4-byte Folded Spill
	ds_store_b128 v0, v[72:75] offset:544
	v_mad_u16 v0, v31, 51, v92
	s_delay_alu instid0(VALU_DEP_1) | instskip(NEXT) | instid1(VALU_DEP_1)
	v_and_b32_e32 v0, 0xffff, v0
	v_lshlrev_b32_e32 v0, 4, v0
	v_fma_f64 v[76:77], v[27:28], s[0:1], v[18:19]
	v_fma_f64 v[80:81], v[27:28], s[8:9], v[18:19]
	v_add_f64 v[18:19], v[84:85], v[88:89]
	v_add_f64 v[27:28], v[86:87], -v[90:91]
	v_fma_f64 v[78:79], v[23:24], s[8:9], v[21:22]
	v_fma_f64 v[82:83], v[23:24], s[0:1], v[21:22]
	v_add_f64 v[21:22], v[86:87], v[90:91]
	v_add_f64 v[23:24], v[34:35], v[86:87]
	ds_store_b128 v0, v[64:67]
	ds_store_b128 v0, v[76:79] offset:272
	v_fma_f64 v[18:19], v[18:19], -0.5, v[32:33]
	v_add_f64 v[32:33], v[25:26], v[88:89]
	v_fma_f64 v[21:22], v[21:22], -0.5, v[34:35]
	v_add_f64 v[34:35], v[23:24], v[90:91]
	v_add_f64 v[23:24], v[84:85], -v[88:89]
	scratch_store_b32 off, v0, off offset:176 ; 4-byte Folded Spill
	ds_store_b128 v0, v[80:83] offset:544
	v_mul_lo_u16 v0, 0xa1, v7
	s_delay_alu instid0(VALU_DEP_1) | instskip(NEXT) | instid1(VALU_DEP_1)
	v_lshrrev_b16 v1, 13, v0
	v_mul_lo_u16 v0, v1, 51
	v_and_b32_e32 v1, 0xffff, v1
	s_delay_alu instid0(VALU_DEP_2) | instskip(NEXT) | instid1(VALU_DEP_2)
	v_sub_nc_u16 v0, v224, v0
	v_mul_u32_u24_e32 v1, 0xff, v1
	s_delay_alu instid0(VALU_DEP_2) | instskip(NEXT) | instid1(VALU_DEP_1)
	v_and_b32_e32 v0, 0xff, v0
	v_lshlrev_b32_e32 v2, 6, v0
	s_delay_alu instid0(VALU_DEP_3)
	v_add_lshl_u32 v0, v1, v0, 4
	v_fma_f64 v[84:85], v[27:28], s[0:1], v[18:19]
	v_fma_f64 v[88:89], v[27:28], s[8:9], v[18:19]
	v_fma_f64 v[86:87], v[23:24], s[8:9], v[21:22]
	v_fma_f64 v[90:91], v[23:24], s[0:1], v[21:22]
	ds_store_b128 v94, v[32:35]
	ds_store_b128 v94, v[84:87] offset:272
	ds_store_b128 v94, v[88:91] offset:544
	s_waitcnt lgkmcnt(0)
	s_waitcnt_vscnt null, 0x0
	s_barrier
	buffer_gl0_inv
	s_clause 0x1
	global_load_b128 v[68:71], v2, s[2:3] offset:544
	global_load_b128 v[72:75], v2, s[2:3] offset:560
	ds_load_b128 v[32:35], v252 offset:5712
	ds_load_b128 v[7:10], v252 offset:3808
	s_mov_b32 s9, 0xbfe2cf23
	s_waitcnt vmcnt(1) lgkmcnt(1)
	v_mul_f64 v[11:12], v[34:35], v[70:71]
	s_delay_alu instid0(VALU_DEP_1) | instskip(SKIP_1) | instid1(VALU_DEP_1)
	v_fma_f64 v[21:22], v[32:33], v[68:69], -v[11:12]
	v_mul_f64 v[11:12], v[32:33], v[70:71]
	v_fma_f64 v[23:24], v[34:35], v[68:69], v[11:12]
	ds_load_b128 v[11:14], v252 offset:11424
	ds_load_b128 v[15:18], v252 offset:13328
	s_clause 0x1
	global_load_b128 v[80:83], v2, s[2:3] offset:592
	global_load_b128 v[76:79], v2, s[2:3] offset:576
	s_waitcnt vmcnt(2) lgkmcnt(1)
	v_mul_f64 v[25:26], v[13:14], v[74:75]
	s_delay_alu instid0(VALU_DEP_1) | instskip(SKIP_1) | instid1(VALU_DEP_1)
	v_fma_f64 v[25:26], v[11:12], v[72:73], -v[25:26]
	v_mul_f64 v[11:12], v[11:12], v[74:75]
	v_fma_f64 v[27:28], v[13:14], v[72:73], v[11:12]
	ds_load_b128 v[11:14], v252 offset:22848
	ds_load_b128 v[32:35], v252 offset:24752
	s_waitcnt vmcnt(1) lgkmcnt(1)
	v_mul_f64 v[2:3], v[13:14], v[82:83]
	s_delay_alu instid0(VALU_DEP_1) | instskip(SKIP_1) | instid1(VALU_DEP_2)
	v_fma_f64 v[29:30], v[11:12], v[80:81], -v[2:3]
	v_mul_f64 v[2:3], v[11:12], v[82:83]
	v_add_f64 v[114:115], v[21:22], -v[29:30]
	s_delay_alu instid0(VALU_DEP_2) | instskip(SKIP_4) | instid1(VALU_DEP_1)
	v_fma_f64 v[48:49], v[13:14], v[80:81], v[2:3]
	ds_load_b128 v[11:14], v252 offset:17136
	ds_load_b128 v[36:39], v252 offset:15232
	s_waitcnt vmcnt(0) lgkmcnt(1)
	v_mul_f64 v[2:3], v[13:14], v[78:79]
	v_fma_f64 v[50:51], v[11:12], v[76:77], -v[2:3]
	v_mul_f64 v[2:3], v[11:12], v[78:79]
	s_delay_alu instid0(VALU_DEP_2) | instskip(NEXT) | instid1(VALU_DEP_2)
	v_add_f64 v[148:149], v[25:26], -v[50:51]
	v_fma_f64 v[52:53], v[13:14], v[76:77], v[2:3]
	v_mul_lo_u16 v2, 0xa1, v5
	s_delay_alu instid0(VALU_DEP_1) | instskip(NEXT) | instid1(VALU_DEP_1)
	v_lshrrev_b16 v19, 13, v2
	v_mul_lo_u16 v2, v19, 51
	s_delay_alu instid0(VALU_DEP_1) | instskip(NEXT) | instid1(VALU_DEP_1)
	v_sub_nc_u16 v2, v4, v2
	v_and_b32_e32 v56, 0xff, v2
	s_delay_alu instid0(VALU_DEP_1)
	v_lshlrev_b32_e32 v31, 6, v56
	s_clause 0x1
	global_load_b128 v[57:60], v31, s[2:3] offset:544
	global_load_b128 v[84:87], v31, s[2:3] offset:560
	ds_load_b128 v[2:5], v252 offset:7616
	ds_load_b128 v[11:14], v252 offset:9520
	v_add_f64 v[112:113], v[27:28], -v[52:53]
	s_waitcnt vmcnt(1) lgkmcnt(1)
	v_mul_f64 v[54:55], v[4:5], v[59:60]
	scratch_store_b128 off, v[57:60], off offset:76 ; 16-byte Folded Spill
	v_fma_f64 v[116:117], v[2:3], v[57:58], -v[54:55]
	v_mul_f64 v[2:3], v[2:3], v[59:60]
	s_delay_alu instid0(VALU_DEP_1)
	v_fma_f64 v[118:119], v[4:5], v[57:58], v[2:3]
	s_clause 0x1
	global_load_b128 v[57:60], v31, s[2:3] offset:576
	global_load_b128 v[88:91], v31, s[2:3] offset:592
	s_waitcnt vmcnt(2)
	v_mul_f64 v[2:3], v[17:18], v[86:87]
	s_delay_alu instid0(VALU_DEP_1) | instskip(SKIP_1) | instid1(VALU_DEP_1)
	v_fma_f64 v[120:121], v[15:16], v[84:85], -v[2:3]
	v_mul_f64 v[2:3], v[15:16], v[86:87]
	v_fma_f64 v[122:123], v[17:18], v[84:85], v[2:3]
	ds_load_b128 v[2:5], v252 offset:19040
	ds_load_b128 v[15:18], v252 offset:20944
	s_waitcnt vmcnt(1) lgkmcnt(1)
	v_mul_f64 v[54:55], v[4:5], v[59:60]
	scratch_store_b128 off, v[57:60], off offset:92 ; 16-byte Folded Spill
	v_fma_f64 v[124:125], v[2:3], v[57:58], -v[54:55]
	v_mul_f64 v[2:3], v[2:3], v[59:60]
	v_add_f64 v[54:55], v[23:24], -v[48:49]
	s_delay_alu instid0(VALU_DEP_3) | instskip(NEXT) | instid1(VALU_DEP_3)
	v_add_f64 v[152:153], v[120:121], -v[124:125]
	v_fma_f64 v[126:127], v[4:5], v[57:58], v[2:3]
	s_waitcnt vmcnt(0)
	v_mul_f64 v[2:3], v[34:35], v[90:91]
	s_delay_alu instid0(VALU_DEP_1) | instskip(SKIP_1) | instid1(VALU_DEP_2)
	v_fma_f64 v[128:129], v[32:33], v[88:89], -v[2:3]
	v_mul_f64 v[2:3], v[32:33], v[90:91]
	v_add_f64 v[150:151], v[116:117], -v[128:129]
	s_delay_alu instid0(VALU_DEP_2) | instskip(SKIP_1) | instid1(VALU_DEP_1)
	v_fma_f64 v[130:131], v[34:35], v[88:89], v[2:3]
	v_mul_u32_u24_e32 v2, 0xa0a1, v6
	v_lshrrev_b32_e32 v57, 21, v2
	s_delay_alu instid0(VALU_DEP_1) | instskip(NEXT) | instid1(VALU_DEP_1)
	v_mul_lo_u16 v2, v57, 51
	v_sub_nc_u16 v58, v20, v2
	s_delay_alu instid0(VALU_DEP_1) | instskip(NEXT) | instid1(VALU_DEP_1)
	v_lshlrev_b16 v2, 6, v58
	v_and_b32_e32 v2, 0xffff, v2
	s_delay_alu instid0(VALU_DEP_1) | instskip(NEXT) | instid1(VALU_DEP_1)
	v_add_co_u32 v2, s0, s2, v2
	v_add_co_ci_u32_e64 v3, null, s3, 0, s0
	s_clause 0x1
	global_load_b128 v[59:62], v[2:3], off offset:544
	global_load_b128 v[31:34], v[2:3], off offset:560
	s_mov_b32 s0, 0x4755a5e
	s_mov_b32 s1, 0x3fe2cf23
	;; [unrolled: 1-line block ×3, first 2 shown]
	s_waitcnt vmcnt(1)
	v_mul_f64 v[4:5], v[13:14], v[61:62]
	scratch_store_b128 off, v[59:62], off offset:140 ; 16-byte Folded Spill
	s_waitcnt vmcnt(0)
	scratch_store_b128 off, v[31:34], off offset:124 ; 16-byte Folded Spill
	v_fma_f64 v[132:133], v[11:12], v[59:60], -v[4:5]
	v_mul_f64 v[4:5], v[11:12], v[61:62]
	s_delay_alu instid0(VALU_DEP_1) | instskip(SKIP_1) | instid1(VALU_DEP_1)
	v_fma_f64 v[134:135], v[13:14], v[59:60], v[4:5]
	v_mul_f64 v[4:5], v[38:39], v[33:34]
	v_fma_f64 v[136:137], v[36:37], v[31:32], -v[4:5]
	v_mul_f64 v[4:5], v[36:37], v[33:34]
	s_delay_alu instid0(VALU_DEP_1)
	v_fma_f64 v[138:139], v[38:39], v[31:32], v[4:5]
	s_clause 0x1
	global_load_b128 v[11:14], v[2:3], off offset:576
	global_load_b128 v[31:34], v[2:3], off offset:592
	s_waitcnt vmcnt(1) lgkmcnt(0)
	v_mul_f64 v[2:3], v[17:18], v[13:14]
	scratch_store_b128 off, v[11:14], off offset:156 ; 16-byte Folded Spill
	s_waitcnt vmcnt(0)
	scratch_store_b128 off, v[31:34], off offset:108 ; 16-byte Folded Spill
	v_fma_f64 v[140:141], v[15:16], v[11:12], -v[2:3]
	v_mul_f64 v[2:3], v[15:16], v[13:14]
	v_add_f64 v[15:16], v[25:26], v[50:51]
	s_delay_alu instid0(VALU_DEP_2) | instskip(SKIP_3) | instid1(VALU_DEP_1)
	v_fma_f64 v[142:143], v[17:18], v[11:12], v[2:3]
	ds_load_b128 v[2:5], v252 offset:26656
	s_waitcnt lgkmcnt(0)
	v_mul_f64 v[11:12], v[4:5], v[33:34]
	v_fma_f64 v[144:145], v[2:3], v[31:32], -v[11:12]
	v_mul_f64 v[2:3], v[2:3], v[33:34]
	s_delay_alu instid0(VALU_DEP_1) | instskip(SKIP_2) | instid1(VALU_DEP_1)
	v_fma_f64 v[146:147], v[4:5], v[31:32], v[2:3]
	v_add_f64 v[2:3], v[21:22], -v[25:26]
	v_add_f64 v[4:5], v[29:30], -v[50:51]
	v_add_f64 v[31:32], v[2:3], v[4:5]
	v_add_f64 v[2:3], v[23:24], -v[27:28]
	v_add_f64 v[4:5], v[48:49], -v[52:53]
	s_delay_alu instid0(VALU_DEP_1)
	v_add_f64 v[34:35], v[2:3], v[4:5]
	ds_load_b128 v[2:5], v252
	ds_load_b128 v[11:14], v252 offset:1904
	s_waitcnt lgkmcnt(0)
	s_waitcnt_vscnt null, 0x0
	s_barrier
	buffer_gl0_inv
	v_fma_f64 v[36:37], v[15:16], -0.5, v[2:3]
	v_add_f64 v[15:16], v[27:28], v[52:53]
	s_delay_alu instid0(VALU_DEP_1) | instskip(NEXT) | instid1(VALU_DEP_3)
	v_fma_f64 v[38:39], v[15:16], -0.5, v[4:5]
	v_fma_f64 v[15:16], v[54:55], s[10:11], v[36:37]
	v_fma_f64 v[36:37], v[54:55], s[16:17], v[36:37]
	s_delay_alu instid0(VALU_DEP_3) | instskip(SKIP_1) | instid1(VALU_DEP_4)
	v_fma_f64 v[17:18], v[114:115], s[16:17], v[38:39]
	v_fma_f64 v[38:39], v[114:115], s[10:11], v[38:39]
	;; [unrolled: 1-line block ×3, first 2 shown]
	s_delay_alu instid0(VALU_DEP_4) | instskip(NEXT) | instid1(VALU_DEP_4)
	v_fma_f64 v[36:37], v[112:113], s[8:9], v[36:37]
	v_fma_f64 v[17:18], v[148:149], s[8:9], v[17:18]
	s_delay_alu instid0(VALU_DEP_4) | instskip(NEXT) | instid1(VALU_DEP_4)
	v_fma_f64 v[38:39], v[148:149], s[0:1], v[38:39]
	v_fma_f64 v[15:16], v[31:32], s[18:19], v[15:16]
	s_delay_alu instid0(VALU_DEP_4) | instskip(SKIP_4) | instid1(VALU_DEP_4)
	v_fma_f64 v[32:33], v[31:32], s[18:19], v[36:37]
	v_add_f64 v[36:37], v[21:22], v[29:30]
	v_fma_f64 v[17:18], v[34:35], s[18:19], v[17:18]
	v_fma_f64 v[34:35], v[34:35], s[18:19], v[38:39]
	v_add_f64 v[38:39], v[23:24], v[48:49]
	v_fma_f64 v[36:37], v[36:37], -0.5, v[2:3]
	v_add_f64 v[2:3], v[2:3], v[21:22]
	v_add_f64 v[21:22], v[25:26], -v[21:22]
	s_delay_alu instid0(VALU_DEP_4) | instskip(SKIP_4) | instid1(VALU_DEP_4)
	v_fma_f64 v[38:39], v[38:39], -0.5, v[4:5]
	v_add_f64 v[4:5], v[4:5], v[23:24]
	v_add_f64 v[23:24], v[27:28], -v[23:24]
	v_add_f64 v[2:3], v[2:3], v[25:26]
	v_add_f64 v[25:26], v[50:51], -v[29:30]
	;; [unrolled: 2-line block ×3, first 2 shown]
	s_delay_alu instid0(VALU_DEP_4) | instskip(NEXT) | instid1(VALU_DEP_4)
	v_add_f64 v[2:3], v[2:3], v[50:51]
	v_add_f64 v[21:22], v[21:22], v[25:26]
	s_delay_alu instid0(VALU_DEP_4) | instskip(NEXT) | instid1(VALU_DEP_4)
	v_add_f64 v[4:5], v[4:5], v[52:53]
	v_add_f64 v[23:24], v[23:24], v[27:28]
	s_delay_alu instid0(VALU_DEP_4)
	v_add_f64 v[2:3], v[2:3], v[29:30]
	v_fma_f64 v[29:30], v[112:113], s[16:17], v[36:37]
	v_fma_f64 v[36:37], v[112:113], s[10:11], v[36:37]
	v_add_f64 v[4:5], v[4:5], v[48:49]
	v_fma_f64 v[48:49], v[148:149], s[10:11], v[38:39]
	v_fma_f64 v[38:39], v[148:149], s[16:17], v[38:39]
	;; [unrolled: 1-line block ×4, first 2 shown]
	v_add_f64 v[148:149], v[122:123], -v[126:127]
	v_fma_f64 v[29:30], v[114:115], s[8:9], v[48:49]
	v_fma_f64 v[50:51], v[114:115], s[0:1], v[38:39]
	;; [unrolled: 1-line block ×4, first 2 shown]
	v_add_f64 v[21:22], v[116:117], -v[120:121]
	v_add_f64 v[25:26], v[130:131], -v[126:127]
	v_add_f64 v[27:28], v[122:123], v[126:127]
	v_fma_f64 v[38:39], v[23:24], s[18:19], v[29:30]
	v_fma_f64 v[50:51], v[23:24], s[18:19], v[50:51]
	v_add_f64 v[23:24], v[128:129], -v[124:125]
	v_add_f64 v[29:30], v[118:119], -v[130:131]
	ds_store_b128 v0, v[2:5]
	ds_store_b128 v0, v[15:18] offset:816
	ds_store_b128 v0, v[36:39] offset:1632
	;; [unrolled: 1-line block ×3, first 2 shown]
	v_fma_f64 v[27:28], v[27:28], -0.5, v[13:14]
	scratch_store_b32 off, v0, off offset:172 ; 4-byte Folded Spill
	ds_store_b128 v0, v[32:35] offset:3264
	v_add_f64 v[21:22], v[21:22], v[23:24]
	v_add_f64 v[23:24], v[118:119], -v[122:123]
	v_and_b32_e32 v0, 0xffff, v19
                                        ; implicit-def: $vgpr48_vgpr49
	s_delay_alu instid0(VALU_DEP_1) | instskip(NEXT) | instid1(VALU_DEP_1)
	v_mul_u32_u24_e32 v0, 0xff, v0
	v_add_lshl_u32 v93, v0, v56, 4
	v_mad_u16 v0, 0xff, v57, v58
	s_delay_alu instid0(VALU_DEP_1) | instskip(NEXT) | instid1(VALU_DEP_1)
	v_and_b32_e32 v0, 0xffff, v0
	v_lshlrev_b32_e32 v92, 4, v0
	v_fma_f64 v[54:55], v[150:151], s[16:17], v[27:28]
	v_fma_f64 v[27:28], v[150:151], s[10:11], v[27:28]
	v_add_f64 v[23:24], v[23:24], v[25:26]
	v_add_f64 v[25:26], v[120:121], v[124:125]
	s_delay_alu instid0(VALU_DEP_4) | instskip(NEXT) | instid1(VALU_DEP_4)
	v_fma_f64 v[54:55], v[152:153], s[8:9], v[54:55]
	v_fma_f64 v[27:28], v[152:153], s[0:1], v[27:28]
	s_delay_alu instid0(VALU_DEP_3) | instskip(NEXT) | instid1(VALU_DEP_3)
	v_fma_f64 v[25:26], v[25:26], -0.5, v[11:12]
	v_fma_f64 v[54:55], v[23:24], s[18:19], v[54:55]
	s_delay_alu instid0(VALU_DEP_3) | instskip(SKIP_4) | instid1(VALU_DEP_4)
	v_fma_f64 v[114:115], v[23:24], s[18:19], v[27:28]
	v_add_f64 v[23:24], v[118:119], v[130:131]
	v_add_f64 v[27:28], v[122:123], -v[118:119]
	v_fma_f64 v[52:53], v[29:30], s[10:11], v[25:26]
	v_fma_f64 v[25:26], v[29:30], s[16:17], v[25:26]
	v_fma_f64 v[23:24], v[23:24], -0.5, v[13:14]
	v_add_f64 v[13:14], v[13:14], v[118:119]
	v_add_f64 v[118:119], v[126:127], -v[130:131]
	v_fma_f64 v[52:53], v[148:149], s[0:1], v[52:53]
	v_fma_f64 v[25:26], v[148:149], s[8:9], v[25:26]
	s_delay_alu instid0(VALU_DEP_4) | instskip(SKIP_1) | instid1(VALU_DEP_4)
	v_add_f64 v[13:14], v[13:14], v[122:123]
	v_fma_f64 v[122:123], v[152:153], s[10:11], v[23:24]
	v_fma_f64 v[52:53], v[21:22], s[18:19], v[52:53]
	s_delay_alu instid0(VALU_DEP_4)
	v_fma_f64 v[112:113], v[21:22], s[18:19], v[25:26]
	v_add_f64 v[21:22], v[116:117], v[128:129]
	v_add_f64 v[25:26], v[120:121], -v[116:117]
	v_fma_f64 v[23:24], v[152:153], s[16:17], v[23:24]
	v_add_f64 v[27:28], v[27:28], v[118:119]
	v_add_f64 v[152:153], v[132:133], -v[144:145]
	v_add_f64 v[13:14], v[13:14], v[126:127]
	v_fma_f64 v[21:22], v[21:22], -0.5, v[11:12]
	v_add_f64 v[11:12], v[11:12], v[116:117]
	v_add_f64 v[116:117], v[124:125], -v[128:129]
	v_fma_f64 v[23:24], v[150:151], s[0:1], v[23:24]
	v_add_f64 v[13:14], v[13:14], v[130:131]
	s_delay_alu instid0(VALU_DEP_4)
	v_add_f64 v[11:12], v[11:12], v[120:121]
	v_fma_f64 v[120:121], v[148:149], s[16:17], v[21:22]
	v_fma_f64 v[21:22], v[148:149], s[10:11], v[21:22]
	v_add_f64 v[25:26], v[25:26], v[116:117]
	v_add_f64 v[148:149], v[134:135], -v[146:147]
	v_add_f64 v[11:12], v[11:12], v[124:125]
	v_fma_f64 v[116:117], v[29:30], s[0:1], v[120:121]
	v_fma_f64 v[21:22], v[29:30], s[8:9], v[21:22]
	;; [unrolled: 1-line block ×4, first 2 shown]
	v_add_f64 v[23:24], v[140:141], -v[144:145]
	v_add_f64 v[150:151], v[136:137], -v[140:141]
	v_add_f64 v[11:12], v[11:12], v[128:129]
	v_fma_f64 v[116:117], v[25:26], s[18:19], v[116:117]
	v_fma_f64 v[120:121], v[25:26], s[18:19], v[21:22]
	v_add_f64 v[21:22], v[136:137], -v[132:133]
	v_add_f64 v[25:26], v[142:143], -v[146:147]
	v_fma_f64 v[118:119], v[27:28], s[18:19], v[29:30]
	v_add_f64 v[27:28], v[134:135], v[146:147]
	v_add_f64 v[29:30], v[138:139], -v[142:143]
	ds_store_b128 v93, v[11:14]
	ds_store_b128 v93, v[52:55] offset:816
	ds_store_b128 v93, v[116:119] offset:1632
	;; [unrolled: 1-line block ×4, first 2 shown]
	v_add_f64 v[21:22], v[21:22], v[23:24]
	v_add_f64 v[23:24], v[138:139], -v[134:135]
	v_fma_f64 v[27:28], v[27:28], -0.5, v[9:10]
                                        ; implicit-def: $vgpr52_vgpr53
	s_delay_alu instid0(VALU_DEP_2) | instskip(SKIP_1) | instid1(VALU_DEP_3)
	v_add_f64 v[23:24], v[23:24], v[25:26]
	v_add_f64 v[25:26], v[132:133], v[144:145]
	v_fma_f64 v[126:127], v[150:151], s[10:11], v[27:28]
	v_fma_f64 v[27:28], v[150:151], s[16:17], v[27:28]
	s_delay_alu instid0(VALU_DEP_3) | instskip(NEXT) | instid1(VALU_DEP_3)
	v_fma_f64 v[25:26], v[25:26], -0.5, v[7:8]
	v_fma_f64 v[126:127], v[152:153], s[8:9], v[126:127]
	s_delay_alu instid0(VALU_DEP_3) | instskip(NEXT) | instid1(VALU_DEP_3)
	v_fma_f64 v[27:28], v[152:153], s[0:1], v[27:28]
	v_fma_f64 v[124:125], v[29:30], s[16:17], v[25:26]
	;; [unrolled: 1-line block ×3, first 2 shown]
	s_delay_alu instid0(VALU_DEP_4) | instskip(NEXT) | instid1(VALU_DEP_4)
	v_fma_f64 v[126:127], v[23:24], s[18:19], v[126:127]
	v_fma_f64 v[130:131], v[23:24], s[18:19], v[27:28]
	v_add_f64 v[23:24], v[138:139], v[142:143]
	v_add_f64 v[27:28], v[134:135], -v[138:139]
	v_fma_f64 v[124:125], v[148:149], s[0:1], v[124:125]
	v_fma_f64 v[25:26], v[148:149], s[8:9], v[25:26]
	s_delay_alu instid0(VALU_DEP_4) | instskip(NEXT) | instid1(VALU_DEP_3)
	v_fma_f64 v[23:24], v[23:24], -0.5, v[9:10]
	v_fma_f64 v[124:125], v[21:22], s[18:19], v[124:125]
	s_delay_alu instid0(VALU_DEP_3) | instskip(SKIP_2) | instid1(VALU_DEP_2)
	v_fma_f64 v[128:129], v[21:22], s[18:19], v[25:26]
	v_add_f64 v[21:22], v[136:137], v[140:141]
	v_add_f64 v[25:26], v[132:133], -v[136:137]
	v_fma_f64 v[21:22], v[21:22], -0.5, v[7:8]
	v_add_f64 v[6:7], v[7:8], v[132:133]
	v_add_f64 v[8:9], v[9:10], v[134:135]
	v_add_f64 v[132:133], v[144:145], -v[140:141]
	v_add_f64 v[134:135], v[146:147], -v[142:143]
	s_delay_alu instid0(VALU_DEP_4) | instskip(NEXT) | instid1(VALU_DEP_4)
	v_add_f64 v[6:7], v[6:7], v[136:137]
	v_add_f64 v[8:9], v[8:9], v[138:139]
	v_fma_f64 v[136:137], v[148:149], s[10:11], v[21:22]
	v_fma_f64 v[21:22], v[148:149], s[16:17], v[21:22]
	;; [unrolled: 1-line block ×4, first 2 shown]
	v_add_f64 v[25:26], v[25:26], v[132:133]
	v_add_f64 v[27:28], v[27:28], v[134:135]
	;; [unrolled: 1-line block ×4, first 2 shown]
	v_fma_f64 v[132:133], v[29:30], s[0:1], v[136:137]
	v_fma_f64 v[21:22], v[29:30], s[8:9], v[21:22]
	;; [unrolled: 1-line block ×4, first 2 shown]
	v_cmp_gt_u16_e64 s0, 17, v224
	v_add_f64 v[6:7], v[6:7], v[144:145]
	v_add_f64 v[8:9], v[8:9], v[146:147]
	v_fma_f64 v[132:133], v[25:26], s[18:19], v[132:133]
	v_fma_f64 v[160:161], v[25:26], s[18:19], v[21:22]
	;; [unrolled: 1-line block ×4, first 2 shown]
	ds_store_b128 v92, v[6:9]
	ds_store_b128 v92, v[132:135] offset:816
	ds_store_b128 v92, v[124:127] offset:1632
	;; [unrolled: 1-line block ×4, first 2 shown]
	s_waitcnt lgkmcnt(0)
	s_waitcnt_vscnt null, 0x0
	s_barrier
	buffer_gl0_inv
	ds_load_b128 v[168:171], v252
	ds_load_b128 v[164:167], v252 offset:1904
	ds_load_b128 v[128:131], v252 offset:4080
	;; [unrolled: 1-line block ×13, first 2 shown]
	s_and_saveexec_b32 s1, s0
	s_cbranch_execz .LBB0_9
; %bb.8:
	ds_load_b128 v[160:163], v252 offset:3808
	ds_load_b128 v[40:43], v252 offset:7888
	;; [unrolled: 1-line block ×7, first 2 shown]
.LBB0_9:
	s_or_b32 exec_lo, exec_lo, s1
	v_mad_u64_u32 v[0:1], null, 0x60, v224, s[2:3]
	s_mov_b32 s18, 0xe976ee23
	s_mov_b32 s19, 0xbfe11646
	;; [unrolled: 1-line block ×6, first 2 shown]
	s_clause 0x1
	global_load_b128 v[4:7], v[0:1], off offset:3808
	global_load_b128 v[8:11], v[0:1], off offset:3824
	v_add_co_u32 v16, s1, 0x2ca0, v0
	s_delay_alu instid0(VALU_DEP_1)
	v_add_co_ci_u32_e64 v17, s1, 0, v1, s1
	s_mov_b32 s10, 0xaaaaaaaa
	s_mov_b32 s16, 0x5476071b
	;; [unrolled: 1-line block ×12, first 2 shown]
	s_waitcnt vmcnt(1) lgkmcnt(11)
	v_mul_f64 v[2:3], v[130:131], v[6:7]
	scratch_store_b128 off, v[4:7], off offset:256 ; 16-byte Folded Spill
	s_waitcnt vmcnt(0)
	scratch_store_b128 off, v[8:11], off offset:272 ; 16-byte Folded Spill
	v_fma_f64 v[196:197], v[128:129], v[4:5], -v[2:3]
	v_mul_f64 v[2:3], v[128:129], v[6:7]
	s_delay_alu instid0(VALU_DEP_1) | instskip(SKIP_2) | instid1(VALU_DEP_1)
	v_fma_f64 v[198:199], v[130:131], v[4:5], v[2:3]
	s_waitcnt lgkmcnt(9)
	v_mul_f64 v[2:3], v[126:127], v[10:11]
	v_fma_f64 v[200:201], v[124:125], v[8:9], -v[2:3]
	v_mul_f64 v[2:3], v[124:125], v[10:11]
	s_delay_alu instid0(VALU_DEP_1)
	v_fma_f64 v[202:203], v[126:127], v[8:9], v[2:3]
	s_clause 0x1
	global_load_b128 v[4:7], v[0:1], off offset:3888
	global_load_b128 v[8:11], v[0:1], off offset:3872
	s_waitcnt vmcnt(1) lgkmcnt(1)
	v_mul_f64 v[2:3], v[134:135], v[6:7]
	scratch_store_b128 off, v[4:7], off offset:304 ; 16-byte Folded Spill
	s_waitcnt vmcnt(0)
	scratch_store_b128 off, v[8:11], off offset:320 ; 16-byte Folded Spill
	v_fma_f64 v[208:209], v[132:133], v[4:5], -v[2:3]
	v_mul_f64 v[2:3], v[132:133], v[6:7]
	s_delay_alu instid0(VALU_DEP_1) | instskip(SKIP_1) | instid1(VALU_DEP_1)
	v_fma_f64 v[210:211], v[134:135], v[4:5], v[2:3]
	v_mul_f64 v[2:3], v[122:123], v[10:11]
	v_fma_f64 v[212:213], v[120:121], v[8:9], -v[2:3]
	v_mul_f64 v[2:3], v[120:121], v[10:11]
	s_delay_alu instid0(VALU_DEP_2) | instskip(NEXT) | instid1(VALU_DEP_2)
	v_add_f64 v[66:67], v[200:201], -v[212:213]
	v_fma_f64 v[214:215], v[122:123], v[8:9], v[2:3]
	s_clause 0x1
	global_load_b128 v[4:7], v[0:1], off offset:3840
	global_load_b128 v[8:11], v[0:1], off offset:3856
	s_waitcnt vmcnt(1)
	v_mul_f64 v[2:3], v[142:143], v[6:7]
	scratch_store_b128 off, v[4:7], off offset:288 ; 16-byte Folded Spill
	s_waitcnt vmcnt(0)
	scratch_store_b128 off, v[8:11], off offset:336 ; 16-byte Folded Spill
	v_fma_f64 v[218:219], v[140:141], v[4:5], -v[2:3]
	v_mul_f64 v[2:3], v[140:141], v[6:7]
	s_delay_alu instid0(VALU_DEP_1) | instskip(SKIP_1) | instid1(VALU_DEP_1)
	v_fma_f64 v[216:217], v[142:143], v[4:5], v[2:3]
	v_mul_f64 v[2:3], v[138:139], v[10:11]
	v_fma_f64 v[222:223], v[136:137], v[8:9], -v[2:3]
	v_mul_f64 v[2:3], v[136:137], v[10:11]
	s_delay_alu instid0(VALU_DEP_1)
	v_fma_f64 v[220:221], v[138:139], v[8:9], v[2:3]
	s_clause 0x1
	global_load_b128 v[4:7], v[16:17], off offset:3808
	global_load_b128 v[8:11], v[16:17], off offset:3824
	s_waitcnt vmcnt(1)
	v_mul_f64 v[0:1], v[154:155], v[6:7]
	v_mul_f64 v[2:3], v[152:153], v[6:7]
	scratch_store_b128 off, v[4:7], off offset:352 ; 16-byte Folded Spill
	s_waitcnt vmcnt(0)
	scratch_store_b128 off, v[8:11], off offset:368 ; 16-byte Folded Spill
	v_mul_f64 v[6:7], v[148:149], v[10:11]
	v_fma_f64 v[0:1], v[152:153], v[4:5], -v[0:1]
	v_fma_f64 v[2:3], v[154:155], v[4:5], v[2:3]
	v_mul_f64 v[4:5], v[150:151], v[10:11]
	s_delay_alu instid0(VALU_DEP_4) | instskip(NEXT) | instid1(VALU_DEP_2)
	v_fma_f64 v[6:7], v[150:151], v[8:9], v[6:7]
	v_fma_f64 v[4:5], v[148:149], v[8:9], -v[4:5]
	s_clause 0x1
	global_load_b128 v[149:152], v[16:17], off offset:3888
	global_load_b128 v[21:24], v[16:17], off offset:3872
	s_waitcnt vmcnt(1) lgkmcnt(0)
	v_mul_f64 v[8:9], v[158:159], v[151:152]
	s_waitcnt vmcnt(0)
	v_mul_f64 v[12:13], v[146:147], v[23:24]
	v_mul_f64 v[14:15], v[144:145], v[23:24]
	scratch_store_b128 off, v[21:24], off offset:384 ; 16-byte Folded Spill
	v_mul_f64 v[10:11], v[156:157], v[151:152]
	v_fma_f64 v[8:9], v[156:157], v[149:150], -v[8:9]
	v_fma_f64 v[12:13], v[144:145], v[21:22], -v[12:13]
	v_fma_f64 v[14:15], v[146:147], v[21:22], v[14:15]
	s_clause 0x1
	global_load_b128 v[145:148], v[16:17], off offset:3840
	global_load_b128 v[21:24], v[16:17], off offset:3856
	v_fma_f64 v[10:11], v[158:159], v[149:150], v[10:11]
	scratch_store_b32 off, v224, off offset:8 ; 4-byte Folded Spill
	s_waitcnt vmcnt(1)
	v_mul_f64 v[16:17], v[38:39], v[147:148]
	s_waitcnt vmcnt(0)
	scratch_store_b128 off, v[21:24], off offset:400 ; 16-byte Folded Spill
	v_fma_f64 v[182:183], v[36:37], v[145:146], -v[16:17]
	v_mul_f64 v[16:17], v[36:37], v[147:148]
	s_delay_alu instid0(VALU_DEP_1) | instskip(SKIP_1) | instid1(VALU_DEP_1)
	v_fma_f64 v[180:181], v[38:39], v[145:146], v[16:17]
	v_mul_f64 v[16:17], v[34:35], v[23:24]
	v_fma_f64 v[194:195], v[32:33], v[21:22], -v[16:17]
	v_mul_f64 v[16:17], v[32:33], v[23:24]
	s_delay_alu instid0(VALU_DEP_1) | instskip(SKIP_1) | instid1(VALU_DEP_1)
	v_fma_f64 v[192:193], v[34:35], v[21:22], v[16:17]
	v_subrev_nc_u32_e32 v16, 17, v224
	v_cndmask_b32_e64 v16, v16, v20, s0
	s_delay_alu instid0(VALU_DEP_1) | instskip(SKIP_1) | instid1(VALU_DEP_2)
	v_mul_i32_i24_e32 v17, 0x60, v16
	v_mul_hi_i32_i24_e32 v16, 0x60, v16
	v_add_co_u32 v24, s1, s2, v17
	s_delay_alu instid0(VALU_DEP_1)
	v_add_co_ci_u32_e64 v25, s1, s3, v16, s1
	s_clause 0x1
	global_load_b128 v[20:23], v[24:25], off offset:3808
	global_load_b128 v[26:29], v[24:25], off offset:3824
	s_mov_b32 s2, 0x36b3c0b5
	s_mov_b32 s3, 0x3fac98ee
	v_add_f64 v[232:233], v[180:181], v[192:193]
	s_waitcnt vmcnt(1)
	v_mul_f64 v[16:17], v[42:43], v[22:23]
	scratch_store_b128 off, v[20:23], off offset:416 ; 16-byte Folded Spill
	s_waitcnt vmcnt(0)
	scratch_store_b128 off, v[26:29], off offset:432 ; 16-byte Folded Spill
	v_fma_f64 v[18:19], v[40:41], v[20:21], -v[16:17]
	v_mul_f64 v[16:17], v[40:41], v[22:23]
	s_delay_alu instid0(VALU_DEP_1) | instskip(SKIP_1) | instid1(VALU_DEP_1)
	v_fma_f64 v[16:17], v[42:43], v[20:21], v[16:17]
	v_mul_f64 v[20:21], v[46:47], v[28:29]
	v_fma_f64 v[22:23], v[44:45], v[26:27], -v[20:21]
	v_mul_f64 v[20:21], v[44:45], v[28:29]
	s_clause 0x1
	global_load_b128 v[28:31], v[24:25], off offset:3888
	global_load_b128 v[40:43], v[24:25], off offset:3872
	v_fma_f64 v[20:21], v[46:47], v[26:27], v[20:21]
	s_waitcnt vmcnt(1)
	v_mul_f64 v[26:27], v[54:55], v[30:31]
	scratch_store_b128 off, v[28:31], off offset:448 ; 16-byte Folded Spill
	s_waitcnt vmcnt(0)
	scratch_store_b128 off, v[40:43], off offset:464 ; 16-byte Folded Spill
	v_fma_f64 v[34:35], v[52:53], v[28:29], -v[26:27]
	v_mul_f64 v[26:27], v[52:53], v[30:31]
	v_add_f64 v[52:53], v[216:217], v[220:221]
	s_delay_alu instid0(VALU_DEP_2) | instskip(SKIP_1) | instid1(VALU_DEP_2)
	v_fma_f64 v[32:33], v[54:55], v[28:29], v[26:27]
	v_mul_f64 v[26:27], v[50:51], v[42:43]
	v_add_f64 v[58:59], v[16:17], v[32:33]
	s_delay_alu instid0(VALU_DEP_2) | instskip(SKIP_3) | instid1(VALU_DEP_3)
	v_fma_f64 v[38:39], v[48:49], v[40:41], -v[26:27]
	v_mul_f64 v[26:27], v[48:49], v[42:43]
	v_add_f64 v[48:49], v[198:199], v[210:211]
	v_add_f64 v[198:199], v[198:199], -v[210:211]
	v_fma_f64 v[36:37], v[50:51], v[40:41], v[26:27]
	s_clause 0x1
	global_load_b128 v[26:29], v[24:25], off offset:3840
	global_load_b128 v[111:114], v[24:25], off offset:3856
	v_add_f64 v[50:51], v[202:203], v[214:215]
	v_add_f64 v[60:61], v[20:21], v[36:37]
	s_delay_alu instid0(VALU_DEP_2) | instskip(NEXT) | instid1(VALU_DEP_1)
	v_add_f64 v[54:55], v[50:51], v[48:49]
	v_add_f64 v[54:55], v[52:53], v[54:55]
	s_delay_alu instid0(VALU_DEP_1) | instskip(SKIP_3) | instid1(VALU_DEP_4)
	v_add_f64 v[186:187], v[170:171], v[54:55]
	v_add_f64 v[170:171], v[4:5], v[12:13]
	v_add_f64 v[4:5], v[4:5], -v[12:13]
	v_add_f64 v[12:13], v[194:195], -v[182:183]
	v_fma_f64 v[54:55], v[54:55], s[10:11], v[186:187]
	s_waitcnt vmcnt(1)
	v_mul_f64 v[24:25], v[174:175], v[28:29]
	scratch_store_b128 off, v[26:29], off offset:480 ; 16-byte Folded Spill
	v_fma_f64 v[42:43], v[172:173], v[26:27], -v[24:25]
	v_mul_f64 v[24:25], v[172:173], v[28:29]
	v_add_f64 v[28:29], v[218:219], v[222:223]
	v_add_f64 v[172:173], v[182:183], v[194:195]
	s_delay_alu instid0(VALU_DEP_3)
	v_fma_f64 v[40:41], v[174:175], v[26:27], v[24:25]
	s_waitcnt vmcnt(0)
	v_mul_f64 v[24:25], v[178:179], v[113:114]
	v_add_f64 v[26:27], v[200:201], v[212:213]
	v_add_f64 v[200:201], v[220:221], -v[216:217]
	v_add_f64 v[216:217], v[50:51], -v[48:49]
	;; [unrolled: 1-line block ×3, first 2 shown]
	v_fma_f64 v[46:47], v[176:177], v[111:112], -v[24:25]
	v_mul_f64 v[24:25], v[176:177], v[113:114]
	v_add_f64 v[176:177], v[2:3], v[10:11]
	v_add_f64 v[2:3], v[2:3], -v[10:11]
	s_delay_alu instid0(VALU_DEP_4) | instskip(NEXT) | instid1(VALU_DEP_4)
	v_add_f64 v[253:254], v[42:43], v[46:47]
	v_fma_f64 v[44:45], v[178:179], v[111:112], v[24:25]
	v_add_f64 v[24:25], v[196:197], v[208:209]
	v_add_f64 v[178:179], v[6:7], v[14:15]
	v_add_f64 v[196:197], v[196:197], -v[208:209]
	v_add_f64 v[6:7], v[6:7], -v[14:15]
	;; [unrolled: 1-line block ×3, first 2 shown]
	v_add_f64 v[62:63], v[40:41], v[44:45]
	v_add_f64 v[30:31], v[26:27], v[24:25]
	;; [unrolled: 1-line block ×3, first 2 shown]
	s_delay_alu instid0(VALU_DEP_2) | instskip(NEXT) | instid1(VALU_DEP_2)
	v_add_f64 v[30:31], v[28:29], v[30:31]
	v_add_f64 v[234:235], v[232:233], v[188:189]
	s_delay_alu instid0(VALU_DEP_2) | instskip(SKIP_1) | instid1(VALU_DEP_3)
	v_add_f64 v[184:185], v[168:169], v[30:31]
	v_add_f64 v[168:169], v[0:1], v[8:9]
	;; [unrolled: 1-line block ×4, first 2 shown]
	v_add_f64 v[0:1], v[0:1], -v[8:9]
	v_add_f64 v[8:9], v[192:193], -v[180:181]
	v_fma_f64 v[30:31], v[30:31], s[10:11], v[184:185]
	v_add_f64 v[174:175], v[170:171], v[168:169]
	v_add_f64 v[10:11], v[170:171], -v[168:169]
	s_delay_alu instid0(VALU_DEP_2) | instskip(NEXT) | instid1(VALU_DEP_1)
	v_add_f64 v[174:175], v[172:173], v[174:175]
	v_add_f64 v[204:205], v[164:165], v[174:175]
	;; [unrolled: 1-line block ×3, first 2 shown]
	s_delay_alu instid0(VALU_DEP_1) | instskip(NEXT) | instid1(VALU_DEP_1)
	v_add_f64 v[188:189], v[166:167], v[164:165]
	v_add_f64 v[56:57], v[253:254], v[188:189]
	;; [unrolled: 1-line block ×3, first 2 shown]
	s_delay_alu instid0(VALU_DEP_1) | instskip(NEXT) | instid1(VALU_DEP_3)
	v_add_f64 v[64:65], v[62:63], v[188:189]
	v_add_f64 v[188:189], v[160:161], v[56:57]
	v_add_f64 v[160:161], v[222:223], -v[218:219]
	s_delay_alu instid0(VALU_DEP_3) | instskip(SKIP_1) | instid1(VALU_DEP_3)
	v_add_f64 v[190:191], v[162:163], v[64:65]
	v_add_f64 v[162:163], v[202:203], -v[214:215]
	v_add_f64 v[210:211], v[160:161], -v[66:67]
	;; [unrolled: 1-line block ×4, first 2 shown]
	v_add_f64 v[208:209], v[160:161], v[66:67]
	v_add_f64 v[66:67], v[66:67], -v[196:197]
	v_add_f64 v[24:25], v[24:25], -v[28:29]
	;; [unrolled: 1-line block ×6, first 2 shown]
	v_add_f64 v[214:215], v[200:201], v[162:163]
	v_add_f64 v[162:163], v[162:163], -v[198:199]
	v_mul_f64 v[220:221], v[210:211], s[18:19]
	v_add_f64 v[228:229], v[208:209], v[196:197]
	v_mul_f64 v[208:209], v[26:27], s[2:3]
	v_mul_f64 v[24:25], v[24:25], s[24:25]
	;; [unrolled: 1-line block ×5, first 2 shown]
	v_add_f64 v[230:231], v[214:215], v[198:199]
	v_mul_f64 v[160:161], v[162:163], s[8:9]
	v_fma_f64 v[212:213], v[66:67], s[8:9], -v[220:221]
	v_mul_f64 v[66:67], v[66:67], s[8:9]
	v_fma_f64 v[208:209], v[202:203], s[16:17], -v[208:209]
	v_fma_f64 v[196:197], v[216:217], s[26:27], -v[28:29]
	;; [unrolled: 1-line block ×4, first 2 shown]
	v_fma_f64 v[214:215], v[228:229], s[20:21], v[212:213]
	v_fma_f64 v[212:213], v[162:163], s[8:9], -v[222:223]
	v_fma_f64 v[66:67], v[48:49], s[28:29], -v[66:67]
	;; [unrolled: 1-line block ×3, first 2 shown]
	v_fma_f64 v[48:49], v[48:49], s[22:23], v[220:221]
	v_fma_f64 v[52:53], v[52:53], s[22:23], v[222:223]
	;; [unrolled: 1-line block ×4, first 2 shown]
	v_add_f64 v[218:219], v[208:209], v[30:31]
	v_add_f64 v[224:225], v[210:211], v[54:55]
	;; [unrolled: 1-line block ×4, first 2 shown]
	v_fma_f64 v[160:161], v[230:231], s[20:21], v[160:161]
	v_fma_f64 v[212:213], v[230:231], s[20:21], v[212:213]
	v_fma_f64 v[66:67], v[228:229], s[20:21], v[66:67]
	v_add_f64 v[162:163], v[162:163], v[30:31]
	v_fma_f64 v[28:29], v[228:229], s[20:21], v[48:49]
	v_fma_f64 v[48:49], v[230:231], s[20:21], v[52:53]
	v_add_f64 v[24:25], v[24:25], v[30:31]
	v_add_f64 v[26:27], v[26:27], v[54:55]
	v_add_f64 v[30:31], v[12:13], -v[4:5]
	v_mul_f64 v[52:53], v[14:15], s[2:3]
	v_add_f64 v[210:211], v[214:215], v[224:225]
	v_add_f64 v[214:215], v[224:225], -v[214:215]
	v_add_f64 v[50:51], v[50:51], v[2:3]
	v_add_f64 v[208:209], v[218:219], -v[212:213]
	v_add_f64 v[212:213], v[212:213], v[218:219]
	v_add_f64 v[216:217], v[160:161], v[162:163]
	v_add_f64 v[218:219], v[196:197], -v[66:67]
	v_add_f64 v[224:225], v[162:163], -v[160:161]
	v_add_f64 v[220:221], v[48:49], v[24:25]
	v_add_f64 v[222:223], v[26:27], -v[28:29]
	v_add_f64 v[228:229], v[24:25], -v[48:49]
	;; [unrolled: 3-line block ×3, first 2 shown]
	v_add_f64 v[24:25], v[178:179], -v[176:177]
	v_add_f64 v[28:29], v[12:13], v[4:5]
	v_add_f64 v[4:5], v[4:5], -v[0:1]
	v_add_f64 v[6:7], v[6:7], -v[2:3]
	v_mul_f64 v[30:31], v[30:31], s[18:19]
	v_add_f64 v[226:227], v[66:67], v[196:197]
	v_fma_f64 v[52:53], v[10:11], s[16:17], -v[52:53]
	v_fma_f64 v[66:67], v[174:175], s[10:11], v[204:205]
	v_fma_f64 v[160:161], v[234:235], s[10:11], v[206:207]
	v_add_f64 v[2:3], v[2:3], -v[8:9]
	v_mul_f64 v[54:55], v[26:27], s[2:3]
	v_mul_f64 v[48:49], v[48:49], s[18:19]
	v_add_f64 v[28:29], v[28:29], v[0:1]
	v_add_f64 v[0:1], v[0:1], -v[12:13]
	v_fma_f64 v[162:163], v[4:5], s[8:9], -v[30:31]
	v_mul_f64 v[4:5], v[4:5], s[8:9]
	v_add_f64 v[52:53], v[52:53], v[66:67]
	v_fma_f64 v[54:55], v[24:25], s[16:17], -v[54:55]
	v_fma_f64 v[170:171], v[6:7], s[8:9], -v[48:49]
	v_mul_f64 v[6:7], v[6:7], s[8:9]
	v_fma_f64 v[162:163], v[28:29], s[20:21], v[162:163]
	v_fma_f64 v[4:5], v[0:1], s[28:29], -v[4:5]
	v_fma_f64 v[0:1], v[0:1], s[22:23], v[30:31]
	v_add_f64 v[54:55], v[54:55], v[160:161]
	v_fma_f64 v[170:171], v[50:51], s[20:21], v[170:171]
	v_fma_f64 v[6:7], v[2:3], s[28:29], -v[6:7]
	v_fma_f64 v[2:3], v[2:3], s[22:23], v[48:49]
	v_fma_f64 v[4:5], v[28:29], s[20:21], v[4:5]
	;; [unrolled: 1-line block ×3, first 2 shown]
	v_add_f64 v[242:243], v[162:163], v[54:55]
	v_add_f64 v[240:241], v[52:53], -v[170:171]
	v_add_f64 v[236:237], v[170:171], v[52:53]
	v_add_f64 v[238:239], v[54:55], -v[162:163]
	v_add_f64 v[52:53], v[168:169], -v[172:173]
	;; [unrolled: 1-line block ×3, first 2 shown]
	v_fma_f64 v[6:7], v[50:51], s[20:21], v[6:7]
	v_fma_f64 v[2:3], v[50:51], s[20:21], v[2:3]
	s_delay_alu instid0(VALU_DEP_4) | instskip(NEXT) | instid1(VALU_DEP_4)
	v_mul_f64 v[8:9], v[52:53], s[24:25]
	v_mul_f64 v[12:13], v[54:55], s[24:25]
	s_delay_alu instid0(VALU_DEP_2) | instskip(NEXT) | instid1(VALU_DEP_2)
	v_fma_f64 v[10:11], v[10:11], s[26:27], -v[8:9]
	v_fma_f64 v[24:25], v[24:25], s[26:27], -v[12:13]
	s_delay_alu instid0(VALU_DEP_2) | instskip(NEXT) | instid1(VALU_DEP_2)
	v_add_f64 v[10:11], v[10:11], v[66:67]
	v_add_f64 v[24:25], v[24:25], v[160:161]
	s_delay_alu instid0(VALU_DEP_2) | instskip(NEXT) | instid1(VALU_DEP_2)
	v_add_f64 v[244:245], v[6:7], v[10:11]
	v_add_f64 v[246:247], v[24:25], -v[4:5]
	v_add_f64 v[232:233], v[10:11], -v[6:7]
	v_add_f64 v[234:235], v[4:5], v[24:25]
	v_fma_f64 v[4:5], v[14:15], s[2:3], v[8:9]
	v_fma_f64 v[6:7], v[26:27], s[2:3], v[12:13]
	v_add_f64 v[8:9], v[44:45], -v[40:41]
	v_add_f64 v[10:11], v[16:17], -v[32:33]
	;; [unrolled: 1-line block ×5, first 2 shown]
	v_fma_f64 v[32:33], v[56:57], s[10:11], v[188:189]
	v_add_f64 v[4:5], v[4:5], v[66:67]
	v_add_f64 v[6:7], v[6:7], v[160:161]
	v_mul_f64 v[28:29], v[14:15], s[2:3]
	s_delay_alu instid0(VALU_DEP_3) | instskip(NEXT) | instid1(VALU_DEP_3)
	v_add_f64 v[248:249], v[2:3], v[4:5]
	v_add_f64 v[250:251], v[6:7], -v[0:1]
	v_add_f64 v[196:197], v[4:5], -v[2:3]
	v_add_f64 v[198:199], v[0:1], v[6:7]
	v_add_f64 v[0:1], v[22:23], -v[38:39]
	v_add_f64 v[2:3], v[46:47], -v[42:43]
	;; [unrolled: 1-line block ×5, first 2 shown]
	v_fma_f64 v[28:29], v[12:13], s[16:17], -v[28:29]
	v_fma_f64 v[34:35], v[64:65], s[10:11], v[190:191]
	v_add_f64 v[22:23], v[2:3], -v[0:1]
	v_add_f64 v[26:27], v[8:9], -v[6:7]
	v_add_f64 v[20:21], v[2:3], v[0:1]
	v_add_f64 v[0:1], v[0:1], -v[4:5]
	v_add_f64 v[24:25], v[8:9], v[6:7]
	v_add_f64 v[6:7], v[6:7], -v[10:11]
	v_mul_f64 v[30:31], v[18:19], s[2:3]
	v_add_f64 v[28:29], v[28:29], v[32:33]
	v_add_f64 v[2:3], v[4:5], -v[2:3]
	v_mul_f64 v[22:23], v[22:23], s[18:19]
	v_mul_f64 v[26:27], v[26:27], s[18:19]
	v_add_f64 v[20:21], v[20:21], v[4:5]
	v_add_f64 v[4:5], v[10:11], -v[8:9]
	v_add_f64 v[24:25], v[24:25], v[10:11]
	v_fma_f64 v[30:31], v[16:17], s[16:17], -v[30:31]
	v_fma_f64 v[36:37], v[0:1], s[8:9], -v[22:23]
	;; [unrolled: 1-line block ×3, first 2 shown]
	v_mul_f64 v[0:1], v[0:1], s[8:9]
	v_mul_f64 v[6:7], v[6:7], s[8:9]
	v_add_f64 v[30:31], v[30:31], v[34:35]
	v_fma_f64 v[36:37], v[20:21], s[20:21], v[36:37]
	v_fma_f64 v[38:39], v[24:25], s[20:21], v[38:39]
	v_fma_f64 v[0:1], v[2:3], s[28:29], -v[0:1]
	v_fma_f64 v[6:7], v[4:5], s[28:29], -v[6:7]
	s_delay_alu instid0(VALU_DEP_4) | instskip(NEXT) | instid1(VALU_DEP_4)
	v_add_f64 v[161:162], v[36:37], v[30:31]
	v_add_f64 v[159:160], v[28:29], -v[38:39]
	v_add_f64 v[170:171], v[38:39], v[28:29]
	v_add_f64 v[172:173], v[30:31], -v[36:37]
	v_add_f64 v[28:29], v[164:165], -v[253:254]
	;; [unrolled: 1-line block ×3, first 2 shown]
	v_fma_f64 v[0:1], v[20:21], s[20:21], v[0:1]
	v_fma_f64 v[6:7], v[24:25], s[20:21], v[6:7]
	s_delay_alu instid0(VALU_DEP_4) | instskip(NEXT) | instid1(VALU_DEP_4)
	v_mul_f64 v[8:9], v[28:29], s[24:25]
	v_mul_f64 v[10:11], v[30:31], s[24:25]
	s_delay_alu instid0(VALU_DEP_2) | instskip(NEXT) | instid1(VALU_DEP_2)
	v_fma_f64 v[12:13], v[12:13], s[26:27], -v[8:9]
	v_fma_f64 v[16:17], v[16:17], s[26:27], -v[10:11]
	s_delay_alu instid0(VALU_DEP_2) | instskip(NEXT) | instid1(VALU_DEP_2)
	v_add_f64 v[12:13], v[12:13], v[32:33]
	v_add_f64 v[16:17], v[16:17], v[34:35]
	s_delay_alu instid0(VALU_DEP_2) | instskip(NEXT) | instid1(VALU_DEP_2)
	v_add_f64 v[192:193], v[6:7], v[12:13]
	v_add_f64 v[194:195], v[16:17], -v[0:1]
	v_add_f64 v[28:29], v[12:13], -v[6:7]
	v_add_f64 v[30:31], v[0:1], v[16:17]
	v_fma_f64 v[0:1], v[2:3], s[22:23], v[22:23]
	v_fma_f64 v[2:3], v[4:5], s[22:23], v[26:27]
	;; [unrolled: 1-line block ×4, first 2 shown]
	scratch_store_b128 off, v[28:31], off offset:28 ; 16-byte Folded Spill
	v_fma_f64 v[0:1], v[20:21], s[20:21], v[0:1]
	v_fma_f64 v[2:3], v[24:25], s[20:21], v[2:3]
	v_add_f64 v[4:5], v[4:5], v[32:33]
	v_add_f64 v[6:7], v[6:7], v[34:35]
	ds_store_b128 v252, v[184:187]
	ds_store_b128 v252, v[204:207] offset:1904
	ds_store_b128 v252, v[220:223] offset:4080
	;; [unrolled: 1-line block ×13, first 2 shown]
	v_add_f64 v[200:201], v[2:3], v[4:5]
	v_add_f64 v[202:203], v[6:7], -v[0:1]
	v_add_f64 v[176:177], v[4:5], -v[2:3]
	v_add_f64 v[178:179], v[0:1], v[6:7]
	s_and_saveexec_b32 s1, s0
	s_cbranch_execz .LBB0_11
; %bb.10:
	ds_store_b128 v252, v[188:191] offset:3808
	ds_store_b128 v252, v[200:203] offset:7888
	;; [unrolled: 1-line block ×5, first 2 shown]
	scratch_load_b128 v[0:3], off, off offset:28 ; 16-byte Folded Reload
	s_waitcnt vmcnt(0)
	ds_store_b128 v252, v[0:3] offset:24208
	ds_store_b128 v252, v[176:179] offset:28288
.LBB0_11:
	s_or_b32 exec_lo, exec_lo, s1
	s_waitcnt lgkmcnt(0)
	s_waitcnt_vscnt null, 0x0
	s_barrier
	buffer_gl0_inv
	s_and_saveexec_b32 s2, vcc_lo
	s_cbranch_execz .LBB0_13
; %bb.12:
	v_add_co_u32 v0, s1, s12, v255
	s_delay_alu instid0(VALU_DEP_1) | instskip(SKIP_1) | instid1(VALU_DEP_3)
	v_add_co_ci_u32_e64 v1, null, s13, 0, s1
	v_dual_mov_b32 v60, v170 :: v_dual_mov_b32 v61, v171
	v_add_co_u32 v2, s1, 0x6000, v0
	s_delay_alu instid0(VALU_DEP_1) | instskip(SKIP_1) | instid1(VALU_DEP_1)
	v_add_co_ci_u32_e64 v3, s1, 0, v1, s1
	v_add_co_u32 v10, s1, 0x6f90, v0
	v_add_co_ci_u32_e64 v11, s1, 0, v1, s1
	s_clause 0x2
	global_load_b128 v[2:5], v[2:3], off offset:3984
	global_load_b128 v[6:9], v[10:11], off offset:1680
	;; [unrolled: 1-line block ×3, first 2 shown]
	v_add_co_u32 v18, s1, 0x8000, v0
	s_delay_alu instid0(VALU_DEP_1) | instskip(SKIP_4) | instid1(VALU_DEP_1)
	v_add_co_ci_u32_e64 v19, s1, 0, v1, s1
	s_clause 0x1
	global_load_b128 v[14:17], v[18:19], off offset:832
	global_load_b128 v[18:21], v[18:19], off offset:2512
	v_add_co_u32 v22, s1, 0x9000, v0
	v_add_co_ci_u32_e64 v23, s1, 0, v1, s1
	s_clause 0x2
	global_load_b128 v[32:35], v[22:23], off offset:96
	global_load_b128 v[36:39], v[22:23], off offset:1776
	global_load_b128 v[40:43], v[22:23], off offset:3456
	v_add_co_u32 v22, s1, 0xa000, v0
	s_delay_alu instid0(VALU_DEP_1)
	v_add_co_ci_u32_e64 v23, s1, 0, v1, s1
	ds_load_b128 v[48:51], v252
	v_dual_mov_b32 v62, v172 :: v_dual_mov_b32 v63, v173
	s_clause 0x1
	global_load_b128 v[44:47], v[22:23], off offset:1040
	global_load_b128 v[52:55], v[22:23], off offset:2720
	v_add_co_u32 v26, s1, 0xb000, v0
	s_delay_alu instid0(VALU_DEP_1)
	v_add_co_ci_u32_e64 v27, s1, 0, v1, s1
	v_dual_mov_b32 v56, v159 :: v_dual_mov_b32 v57, v160
	v_dual_mov_b32 v58, v161 :: v_dual_mov_b32 v59, v162
	global_load_b128 v[160:163], v[26:27], off offset:304
	v_dual_mov_b32 v135, v176 :: v_dual_mov_b32 v136, v177
	v_dual_mov_b32 v137, v178 :: v_dual_mov_b32 v138, v179
	s_waitcnt vmcnt(10) lgkmcnt(0)
	v_mul_f64 v[24:25], v[50:51], v[4:5]
	v_mul_f64 v[4:5], v[48:49], v[4:5]
	s_delay_alu instid0(VALU_DEP_2) | instskip(NEXT) | instid1(VALU_DEP_2)
	v_fma_f64 v[48:49], v[48:49], v[2:3], -v[24:25]
	v_fma_f64 v[50:51], v[50:51], v[2:3], v[4:5]
	ds_store_b128 v252, v[48:51]
	ds_load_b128 v[2:5], v255 offset:1680
	ds_load_b128 v[164:167], v255 offset:3360
	global_load_b128 v[48:51], v[26:27], off offset:1984
	ds_load_b128 v[168:171], v255 offset:6720
	s_waitcnt vmcnt(10) lgkmcnt(2)
	v_mul_f64 v[22:23], v[4:5], v[8:9]
	v_mul_f64 v[8:9], v[2:3], v[8:9]
	s_waitcnt vmcnt(9) lgkmcnt(1)
	v_mul_f64 v[24:25], v[166:167], v[12:13]
	v_mul_f64 v[12:13], v[164:165], v[12:13]
	s_delay_alu instid0(VALU_DEP_4) | instskip(NEXT) | instid1(VALU_DEP_4)
	v_fma_f64 v[2:3], v[2:3], v[6:7], -v[22:23]
	v_fma_f64 v[4:5], v[4:5], v[6:7], v[8:9]
	ds_load_b128 v[6:9], v255 offset:5040
	v_fma_f64 v[164:165], v[164:165], v[10:11], -v[24:25]
	v_fma_f64 v[166:167], v[166:167], v[10:11], v[12:13]
	s_waitcnt vmcnt(7) lgkmcnt(1)
	v_mul_f64 v[22:23], v[170:171], v[20:21]
	v_mul_f64 v[24:25], v[168:169], v[20:21]
	s_waitcnt lgkmcnt(0)
	v_mul_f64 v[10:11], v[8:9], v[16:17]
	v_mul_f64 v[12:13], v[6:7], v[16:17]
	s_delay_alu instid0(VALU_DEP_4) | instskip(NEXT) | instid1(VALU_DEP_4)
	v_fma_f64 v[20:21], v[168:169], v[18:19], -v[22:23]
	v_fma_f64 v[22:23], v[170:171], v[18:19], v[24:25]
	s_delay_alu instid0(VALU_DEP_4) | instskip(NEXT) | instid1(VALU_DEP_4)
	v_fma_f64 v[6:7], v[6:7], v[14:15], -v[10:11]
	v_fma_f64 v[8:9], v[8:9], v[14:15], v[12:13]
	ds_load_b128 v[10:13], v255 offset:8400
	ds_load_b128 v[14:17], v255 offset:10080
	s_waitcnt vmcnt(6) lgkmcnt(1)
	v_mul_f64 v[18:19], v[12:13], v[34:35]
	v_mul_f64 v[24:25], v[10:11], v[34:35]
	s_waitcnt vmcnt(5) lgkmcnt(0)
	v_mul_f64 v[28:29], v[16:17], v[38:39]
	v_mul_f64 v[30:31], v[14:15], v[38:39]
	s_delay_alu instid0(VALU_DEP_4) | instskip(NEXT) | instid1(VALU_DEP_4)
	v_fma_f64 v[10:11], v[10:11], v[32:33], -v[18:19]
	v_fma_f64 v[12:13], v[12:13], v[32:33], v[24:25]
	ds_load_b128 v[32:35], v255 offset:11760
	ds_load_b128 v[168:171], v255 offset:13440
	v_fma_f64 v[14:15], v[14:15], v[36:37], -v[28:29]
	v_fma_f64 v[16:17], v[16:17], v[36:37], v[30:31]
	s_waitcnt vmcnt(4) lgkmcnt(1)
	v_mul_f64 v[18:19], v[34:35], v[42:43]
	v_mul_f64 v[24:25], v[32:33], v[42:43]
	s_waitcnt vmcnt(3) lgkmcnt(0)
	v_mul_f64 v[28:29], v[170:171], v[46:47]
	v_mul_f64 v[30:31], v[168:169], v[46:47]
	s_delay_alu instid0(VALU_DEP_4) | instskip(NEXT) | instid1(VALU_DEP_4)
	v_fma_f64 v[32:33], v[32:33], v[40:41], -v[18:19]
	v_fma_f64 v[34:35], v[34:35], v[40:41], v[24:25]
	ds_load_b128 v[36:39], v255 offset:15120
	ds_load_b128 v[40:43], v255 offset:16800
	v_fma_f64 v[168:169], v[168:169], v[44:45], -v[28:29]
	v_fma_f64 v[170:171], v[170:171], v[44:45], v[30:31]
	global_load_b128 v[44:47], v[26:27], off offset:3664
	v_add_co_u32 v26, s1, 0xc000, v0
	s_delay_alu instid0(VALU_DEP_1) | instskip(SKIP_1) | instid1(VALU_DEP_1)
	v_add_co_ci_u32_e64 v27, s1, 0, v1, s1
	v_add_co_u32 v0, s1, 0xd000, v0
	v_add_co_ci_u32_e64 v1, s1, 0, v1, s1
	global_load_b128 v[172:175], v[26:27], off offset:1248
	ds_load_b128 v[176:179], v255 offset:23520
	global_load_b128 v[180:183], v[0:1], off offset:512
	s_waitcnt vmcnt(5) lgkmcnt(2)
	v_mul_f64 v[18:19], v[38:39], v[54:55]
	v_mul_f64 v[24:25], v[36:37], v[54:55]
	s_waitcnt vmcnt(4) lgkmcnt(1)
	v_mul_f64 v[28:29], v[42:43], v[162:163]
	v_mul_f64 v[30:31], v[40:41], v[162:163]
	s_delay_alu instid0(VALU_DEP_4) | instskip(NEXT) | instid1(VALU_DEP_4)
	v_fma_f64 v[36:37], v[36:37], v[52:53], -v[18:19]
	v_fma_f64 v[38:39], v[38:39], v[52:53], v[24:25]
	ds_load_b128 v[52:55], v255 offset:18480
	v_fma_f64 v[40:41], v[40:41], v[160:161], -v[28:29]
	v_fma_f64 v[42:43], v[42:43], v[160:161], v[30:31]
	ds_load_b128 v[160:163], v255 offset:20160
	s_waitcnt vmcnt(3) lgkmcnt(1)
	v_mul_f64 v[18:19], v[54:55], v[50:51]
	v_mul_f64 v[24:25], v[52:53], v[50:51]
	s_delay_alu instid0(VALU_DEP_2) | instskip(NEXT) | instid1(VALU_DEP_2)
	v_fma_f64 v[50:51], v[52:53], v[48:49], -v[18:19]
	v_fma_f64 v[52:53], v[54:55], v[48:49], v[24:25]
	s_waitcnt vmcnt(2) lgkmcnt(0)
	v_mul_f64 v[18:19], v[162:163], v[46:47]
	v_mul_f64 v[24:25], v[160:161], v[46:47]
	s_delay_alu instid0(VALU_DEP_2) | instskip(NEXT) | instid1(VALU_DEP_2)
	v_fma_f64 v[46:47], v[160:161], v[44:45], -v[18:19]
	v_fma_f64 v[48:49], v[162:163], v[44:45], v[24:25]
	ds_load_b128 v[160:163], v255 offset:21840
	s_waitcnt vmcnt(1) lgkmcnt(0)
	v_mul_f64 v[18:19], v[162:163], v[174:175]
	v_mul_f64 v[24:25], v[160:161], v[174:175]
	s_delay_alu instid0(VALU_DEP_2) | instskip(NEXT) | instid1(VALU_DEP_2)
	v_fma_f64 v[160:161], v[160:161], v[172:173], -v[18:19]
	v_fma_f64 v[162:163], v[162:163], v[172:173], v[24:25]
	global_load_b128 v[172:175], v[26:27], off offset:2928
	s_waitcnt vmcnt(0)
	v_mul_f64 v[18:19], v[178:179], v[174:175]
	v_mul_f64 v[24:25], v[176:177], v[174:175]
	s_delay_alu instid0(VALU_DEP_2) | instskip(NEXT) | instid1(VALU_DEP_2)
	v_fma_f64 v[174:175], v[176:177], v[172:173], -v[18:19]
	v_fma_f64 v[176:177], v[178:179], v[172:173], v[24:25]
	ds_load_b128 v[24:27], v255 offset:25200
	ds_load_b128 v[28:31], v255 offset:26880
	s_waitcnt lgkmcnt(1)
	v_mul_f64 v[18:19], v[26:27], v[182:183]
	v_mul_f64 v[44:45], v[24:25], v[182:183]
	s_delay_alu instid0(VALU_DEP_2) | instskip(NEXT) | instid1(VALU_DEP_2)
	v_fma_f64 v[24:25], v[24:25], v[180:181], -v[18:19]
	v_fma_f64 v[26:27], v[26:27], v[180:181], v[44:45]
	global_load_b128 v[178:181], v[0:1], off offset:2192
	ds_store_b128 v255, v[2:5] offset:1680
	ds_store_b128 v255, v[164:167] offset:3360
	;; [unrolled: 1-line block ×8, first 2 shown]
	v_dual_mov_b32 v173, v63 :: v_dual_mov_b32 v172, v62
	ds_store_b128 v255, v[36:39] offset:15120
	ds_store_b128 v255, v[40:43] offset:16800
	;; [unrolled: 1-line block ×5, first 2 shown]
	v_dual_mov_b32 v162, v59 :: v_dual_mov_b32 v161, v58
	ds_store_b128 v255, v[174:177] offset:23520
	v_dual_mov_b32 v171, v61 :: v_dual_mov_b32 v170, v60
	v_dual_mov_b32 v160, v57 :: v_dual_mov_b32 v159, v56
	s_waitcnt vmcnt(0) lgkmcnt(14)
	v_mul_f64 v[0:1], v[30:31], v[180:181]
	v_mul_f64 v[18:19], v[28:29], v[180:181]
	s_delay_alu instid0(VALU_DEP_2) | instskip(NEXT) | instid1(VALU_DEP_2)
	v_fma_f64 v[28:29], v[28:29], v[178:179], -v[0:1]
	v_fma_f64 v[30:31], v[30:31], v[178:179], v[18:19]
	v_dual_mov_b32 v179, v138 :: v_dual_mov_b32 v178, v137
	v_dual_mov_b32 v177, v136 :: v_dual_mov_b32 v176, v135
	ds_store_b128 v255, v[24:27] offset:25200
	ds_store_b128 v255, v[28:31] offset:26880
.LBB0_13:
	s_or_b32 exec_lo, exec_lo, s2
	s_waitcnt lgkmcnt(0)
	s_barrier
	buffer_gl0_inv
	s_and_saveexec_b32 s1, vcc_lo
	s_cbranch_execz .LBB0_15
; %bb.14:
	ds_load_b128 v[184:187], v252
	ds_load_b128 v[220:223], v252 offset:1680
	ds_load_b128 v[216:219], v252 offset:3360
	;; [unrolled: 1-line block ×16, first 2 shown]
.LBB0_15:
	s_or_b32 exec_lo, exec_lo, s1
	s_waitcnt lgkmcnt(0)
	v_add_f64 v[16:17], v[222:223], -v[194:195]
	s_mov_b32 s10, 0x5d8e7cdc
	s_mov_b32 s11, 0xbfd71e95
	v_add_f64 v[14:15], v[220:221], v[192:193]
	v_add_f64 v[168:169], v[218:219], -v[202:203]
	s_mov_b32 s2, 0x370991
	s_mov_b32 s16, 0x2a9d6da3
	;; [unrolled: 1-line block ×4, first 2 shown]
	v_add_f64 v[34:35], v[216:217], v[200:201]
	v_add_f64 v[20:21], v[222:223], v[194:195]
	s_mov_b32 s8, 0x75d4884
	s_mov_b32 s9, 0x3fe7a5f6
	v_add_f64 v[18:19], v[220:221], -v[192:193]
	v_add_f64 v[38:39], v[218:219], v[202:203]
	v_add_f64 v[32:33], v[216:217], -v[200:201]
	v_add_f64 v[174:175], v[210:211], -v[190:191]
	s_mov_b32 s24, 0x7c9e640b
	s_mov_b32 s25, 0xbfeca52d
	v_add_f64 v[40:41], v[208:209], v[188:189]
	v_add_f64 v[46:47], v[210:211], v[190:191]
	s_mov_b32 s18, 0x2b2883cd
	s_mov_b32 s19, 0x3fdc86fa
	v_add_f64 v[44:45], v[208:209], -v[188:189]
	v_add_f64 v[42:43], v[214:215], -v[198:199]
	s_mov_b32 s34, 0xeb564b22
	s_mov_b32 s35, 0xbfefdd0d
	v_add_f64 v[48:49], v[212:213], v[196:197]
	v_add_f64 v[36:37], v[214:215], v[198:199]
	s_mov_b32 s20, 0x3259b75e
	s_mov_b32 s21, 0x3fb79ee6
	v_add_f64 v[54:55], v[212:213], -v[196:197]
	v_add_f64 v[52:53], v[226:227], -v[234:235]
	s_mov_b32 s46, 0x923c349f
	s_mov_b32 s47, 0xbfeec746
	v_add_f64 v[50:51], v[224:225], v[232:233]
	s_mov_b32 s22, 0xc61f0d01
	s_mov_b32 s23, 0xbfd183b1
	v_mul_f64 v[141:142], v[16:17], s[10:11]
	v_add_f64 v[135:136], v[226:227], v[234:235]
	s_mov_b32 s36, 0x6c9a05f6
	s_mov_b32 s37, 0xbfe9895b
	v_mul_f64 v[66:67], v[168:169], s[16:17]
	v_add_f64 v[137:138], v[228:229], v[236:237]
	s_mov_b32 s26, 0x6ed5f1bb
	s_mov_b32 s27, 0xbfe348c8
	v_add_f64 v[139:140], v[230:231], v[238:239]
	s_mov_b32 s40, 0x4363dd80
	v_mul_f64 v[125:126], v[20:21], s[2:3]
	s_mov_b32 s41, 0x3fe0d888
	s_mov_b32 s39, 0xbfe0d888
	;; [unrolled: 1-line block ×3, first 2 shown]
	v_mul_f64 v[121:122], v[38:39], s[8:9]
	v_add_f64 v[131:132], v[204:205], v[240:241]
	v_mul_f64 v[133:134], v[174:175], s[24:25]
	s_mov_b32 s28, 0x910ea3b9
	s_mov_b32 s29, 0xbfeb34fa
	v_add_f64 v[115:116], v[206:207], v[242:243]
	v_mul_f64 v[153:154], v[46:47], s[18:19]
	s_mov_b32 s49, 0xbfc7851a
	s_mov_b32 s48, 0xacd6c6b4
	v_add_f64 v[117:118], v[248:249], v[244:245]
	v_mul_f64 v[155:156], v[42:43], s[34:35]
	v_add_f64 v[119:120], v[250:251], v[246:247]
	v_mul_f64 v[60:61], v[168:169], s[34:35]
	v_mul_f64 v[129:130], v[38:39], s[20:21]
	;; [unrolled: 1-line block ×4, first 2 shown]
	s_mov_b32 s45, 0x3feec746
	s_mov_b32 s44, s46
	v_mul_f64 v[157:158], v[52:53], s[46:47]
	v_mul_f64 v[123:124], v[52:53], s[40:41]
	s_mov_b32 s42, s24
	s_mov_b32 s51, 0x3fd71e95
	;; [unrolled: 1-line block ×3, first 2 shown]
	v_fma_f64 v[0:1], v[14:15], s[2:3], -v[141:142]
	v_mul_f64 v[253:254], v[135:136], s[22:23]
	v_fma_f64 v[2:3], v[34:35], s[8:9], -v[66:67]
	v_mul_f64 v[58:59], v[139:140], s[26:27]
	v_fma_f64 v[4:5], v[32:33], s[16:17], v[121:122]
	v_mul_f64 v[64:65], v[115:116], s[28:29]
	v_mul_f64 v[127:128], v[119:120], s[30:31]
	v_fma_f64 v[28:29], v[32:33], s[34:35], v[129:130]
	v_add_f64 v[0:1], v[184:185], v[0:1]
	s_delay_alu instid0(VALU_DEP_1) | instskip(SKIP_1) | instid1(VALU_DEP_1)
	v_add_f64 v[0:1], v[2:3], v[0:1]
	v_fma_f64 v[2:3], v[18:19], s[10:11], v[125:126]
	v_add_f64 v[2:3], v[186:187], v[2:3]
	s_delay_alu instid0(VALU_DEP_1) | instskip(SKIP_1) | instid1(VALU_DEP_1)
	v_add_f64 v[2:3], v[4:5], v[2:3]
	v_fma_f64 v[4:5], v[40:41], s[18:19], -v[133:134]
	v_add_f64 v[0:1], v[4:5], v[0:1]
	v_fma_f64 v[4:5], v[44:45], s[24:25], v[153:154]
	s_delay_alu instid0(VALU_DEP_1) | instskip(SKIP_1) | instid1(VALU_DEP_1)
	v_add_f64 v[2:3], v[4:5], v[2:3]
	v_fma_f64 v[4:5], v[48:49], s[20:21], -v[155:156]
	v_add_f64 v[0:1], v[4:5], v[0:1]
	v_fma_f64 v[4:5], v[54:55], s[34:35], v[163:164]
	s_delay_alu instid0(VALU_DEP_1) | instskip(SKIP_1) | instid1(VALU_DEP_1)
	v_add_f64 v[4:5], v[4:5], v[2:3]
	v_fma_f64 v[2:3], v[50:51], s[22:23], -v[157:158]
	v_add_f64 v[6:7], v[2:3], v[0:1]
	v_add_f64 v[2:3], v[224:225], -v[232:233]
	s_delay_alu instid0(VALU_DEP_1) | instskip(NEXT) | instid1(VALU_DEP_1)
	v_fma_f64 v[0:1], v[2:3], s[46:47], v[253:254]
	v_add_f64 v[8:9], v[0:1], v[4:5]
	v_add_f64 v[0:1], v[230:231], -v[238:239]
	s_delay_alu instid0(VALU_DEP_1) | instskip(NEXT) | instid1(VALU_DEP_1)
	v_mul_f64 v[165:166], v[0:1], s[36:37]
	v_fma_f64 v[4:5], v[137:138], s[26:27], -v[165:166]
	s_delay_alu instid0(VALU_DEP_1) | instskip(SKIP_1) | instid1(VALU_DEP_1)
	v_add_f64 v[6:7], v[4:5], v[6:7]
	v_add_f64 v[4:5], v[228:229], -v[236:237]
	v_fma_f64 v[10:11], v[4:5], s[36:37], v[58:59]
	s_delay_alu instid0(VALU_DEP_1) | instskip(SKIP_1) | instid1(VALU_DEP_1)
	v_add_f64 v[8:9], v[10:11], v[8:9]
	v_add_f64 v[10:11], v[206:207], -v[242:243]
	v_mul_f64 v[56:57], v[10:11], s[38:39]
	s_delay_alu instid0(VALU_DEP_1) | instskip(NEXT) | instid1(VALU_DEP_1)
	v_fma_f64 v[12:13], v[131:132], s[28:29], -v[56:57]
	v_add_f64 v[22:23], v[12:13], v[6:7]
	v_add_f64 v[12:13], v[204:205], -v[240:241]
	s_delay_alu instid0(VALU_DEP_1) | instskip(NEXT) | instid1(VALU_DEP_1)
	v_fma_f64 v[6:7], v[12:13], s[38:39], v[64:65]
	v_add_f64 v[24:25], v[6:7], v[8:9]
	v_add_f64 v[6:7], v[250:251], -v[246:247]
	s_delay_alu instid0(VALU_DEP_1) | instskip(NEXT) | instid1(VALU_DEP_1)
	v_mul_f64 v[62:63], v[6:7], s[48:49]
	v_fma_f64 v[8:9], v[117:118], s[30:31], -v[62:63]
	s_delay_alu instid0(VALU_DEP_1) | instskip(SKIP_1) | instid1(VALU_DEP_1)
	v_add_f64 v[180:181], v[8:9], v[22:23]
	v_add_f64 v[8:9], v[248:249], -v[244:245]
	v_fma_f64 v[22:23], v[8:9], s[48:49], v[127:128]
	s_delay_alu instid0(VALU_DEP_1) | instskip(SKIP_4) | instid1(VALU_DEP_1)
	v_add_f64 v[182:183], v[22:23], v[24:25]
	v_mul_f64 v[22:23], v[16:17], s[16:17]
	v_fma_f64 v[24:25], v[34:35], s[20:21], -v[60:61]
	scratch_store_b64 off, v[22:23], off offset:584 ; 8-byte Folded Spill
	v_fma_f64 v[22:23], v[14:15], s[8:9], -v[22:23]
	v_add_f64 v[22:23], v[184:185], v[22:23]
	s_delay_alu instid0(VALU_DEP_1) | instskip(SKIP_1) | instid1(VALU_DEP_1)
	v_add_f64 v[24:25], v[24:25], v[22:23]
	v_mul_f64 v[22:23], v[20:21], s[8:9]
	v_fma_f64 v[26:27], v[18:19], s[16:17], v[22:23]
	s_delay_alu instid0(VALU_DEP_1) | instskip(NEXT) | instid1(VALU_DEP_1)
	v_add_f64 v[26:27], v[186:187], v[26:27]
	v_add_f64 v[26:27], v[28:29], v[26:27]
	v_fma_f64 v[28:29], v[40:41], s[26:27], -v[143:144]
	s_delay_alu instid0(VALU_DEP_1) | instskip(SKIP_3) | instid1(VALU_DEP_1)
	v_add_f64 v[24:25], v[28:29], v[24:25]
	v_mul_f64 v[28:29], v[46:47], s[26:27]
	scratch_store_b64 off, v[28:29], off offset:536 ; 8-byte Folded Spill
	v_fma_f64 v[28:29], v[44:45], s[36:37], v[28:29]
	v_add_f64 v[26:27], v[28:29], v[26:27]
	v_mul_f64 v[28:29], v[42:43], s[48:49]
	scratch_store_b64 off, v[28:29], off offset:496 ; 8-byte Folded Spill
	v_fma_f64 v[28:29], v[48:49], s[30:31], -v[28:29]
	s_delay_alu instid0(VALU_DEP_1) | instskip(SKIP_3) | instid1(VALU_DEP_1)
	v_add_f64 v[24:25], v[28:29], v[24:25]
	v_mul_f64 v[28:29], v[36:37], s[30:31]
	scratch_store_b64 off, v[28:29], off offset:576 ; 8-byte Folded Spill
	v_fma_f64 v[28:29], v[54:55], s[48:49], v[28:29]
	v_add_f64 v[26:27], v[28:29], v[26:27]
	v_fma_f64 v[28:29], v[50:51], s[28:29], -v[123:124]
	s_delay_alu instid0(VALU_DEP_1) | instskip(SKIP_3) | instid1(VALU_DEP_1)
	v_add_f64 v[24:25], v[28:29], v[24:25]
	v_mul_f64 v[28:29], v[135:136], s[28:29]
	scratch_store_b64 off, v[28:29], off offset:544 ; 8-byte Folded Spill
	v_fma_f64 v[28:29], v[2:3], s[40:41], v[28:29]
	v_add_f64 v[26:27], v[28:29], v[26:27]
	v_mul_f64 v[28:29], v[0:1], s[44:45]
	scratch_store_b64 off, v[28:29], off offset:512 ; 8-byte Folded Spill
	v_fma_f64 v[28:29], v[137:138], s[22:23], -v[28:29]
	s_delay_alu instid0(VALU_DEP_1) | instskip(SKIP_3) | instid1(VALU_DEP_1)
	v_add_f64 v[24:25], v[28:29], v[24:25]
	v_mul_f64 v[28:29], v[139:140], s[22:23]
	scratch_store_b64 off, v[28:29], off offset:552 ; 8-byte Folded Spill
	v_fma_f64 v[28:29], v[4:5], s[44:45], v[28:29]
	v_add_f64 v[26:27], v[28:29], v[26:27]
	v_mul_f64 v[28:29], v[10:11], s[42:43]
	scratch_store_b64 off, v[28:29], off offset:520 ; 8-byte Folded Spill
	;; [unrolled: 9-line block ×3, first 2 shown]
	v_fma_f64 v[28:29], v[117:118], s[2:3], -v[28:29]
	s_delay_alu instid0(VALU_DEP_1) | instskip(SKIP_3) | instid1(VALU_DEP_1)
	v_add_f64 v[28:29], v[28:29], v[24:25]
	v_mul_f64 v[24:25], v[119:120], s[2:3]
	scratch_store_b64 off, v[24:25], off offset:568 ; 8-byte Folded Spill
	v_fma_f64 v[24:25], v[8:9], s[50:51], v[24:25]
	v_add_f64 v[30:31], v[24:25], v[26:27]
	scratch_store_b128 off, v[28:31], off offset:12 ; 16-byte Folded Spill
	s_waitcnt_vscnt null, 0x0
	s_barrier
	buffer_gl0_inv
	s_and_saveexec_b32 s1, vcc_lo
	s_cbranch_execz .LBB0_17
; %bb.16:
	v_add_f64 v[26:27], v[184:185], v[220:221]
	v_add_f64 v[24:25], v[186:187], v[222:223]
	s_mov_b32 s55, 0x3fe58eea
	s_mov_b32 s54, s16
	;; [unrolled: 1-line block ×6, first 2 shown]
	s_delay_alu instid0(VALU_DEP_2) | instskip(NEXT) | instid1(VALU_DEP_2)
	v_add_f64 v[26:27], v[26:27], v[216:217]
	v_add_f64 v[24:25], v[24:25], v[218:219]
	s_delay_alu instid0(VALU_DEP_2) | instskip(NEXT) | instid1(VALU_DEP_2)
	v_add_f64 v[26:27], v[26:27], v[208:209]
	v_add_f64 v[24:25], v[24:25], v[210:211]
	s_delay_alu instid0(VALU_DEP_2) | instskip(NEXT) | instid1(VALU_DEP_2)
	v_add_f64 v[26:27], v[26:27], v[212:213]
	v_add_f64 v[24:25], v[24:25], v[214:215]
	s_delay_alu instid0(VALU_DEP_2) | instskip(NEXT) | instid1(VALU_DEP_2)
	v_add_f64 v[26:27], v[26:27], v[224:225]
	v_add_f64 v[24:25], v[24:25], v[226:227]
	s_delay_alu instid0(VALU_DEP_2) | instskip(NEXT) | instid1(VALU_DEP_2)
	v_add_f64 v[26:27], v[26:27], v[228:229]
	v_add_f64 v[24:25], v[24:25], v[230:231]
	v_mul_f64 v[228:229], v[42:43], s[54:55]
	v_mul_f64 v[230:231], v[2:3], s[36:37]
	s_delay_alu instid0(VALU_DEP_4) | instskip(NEXT) | instid1(VALU_DEP_4)
	v_add_f64 v[26:27], v[26:27], v[204:205]
	v_add_f64 v[24:25], v[24:25], v[206:207]
	v_mul_f64 v[204:205], v[16:17], s[34:35]
	s_delay_alu instid0(VALU_DEP_3) | instskip(NEXT) | instid1(VALU_DEP_3)
	v_add_f64 v[26:27], v[26:27], v[248:249]
	v_add_f64 v[24:25], v[24:25], v[250:251]
	v_dual_mov_b32 v249, v61 :: v_dual_mov_b32 v248, v60
	v_mul_f64 v[60:61], v[18:19], s[46:47]
	v_dual_mov_b32 v251, v63 :: v_dual_mov_b32 v250, v62
	v_fma_f64 v[214:215], v[14:15], s[20:21], -v[204:205]
	v_fma_f64 v[204:205], v[14:15], s[20:21], v[204:205]
	v_add_f64 v[26:27], v[26:27], v[244:245]
	v_add_f64 v[24:25], v[24:25], v[246:247]
	v_dual_mov_b32 v245, v57 :: v_dual_mov_b32 v244, v56
	v_mul_f64 v[56:57], v[18:19], s[36:37]
	v_dual_mov_b32 v247, v59 :: v_dual_mov_b32 v246, v58
	v_fma_f64 v[62:63], v[20:21], s[22:23], v[60:61]
	v_fma_f64 v[60:61], v[20:21], s[22:23], -v[60:61]
	v_add_f64 v[26:27], v[26:27], v[240:241]
	v_add_f64 v[24:25], v[24:25], v[242:243]
	v_mul_f64 v[240:241], v[10:11], s[46:47]
	v_mul_f64 v[242:243], v[8:9], s[52:53]
	v_fma_f64 v[58:59], v[20:21], s[26:27], v[56:57]
	v_fma_f64 v[56:57], v[20:21], s[26:27], -v[56:57]
	v_add_f64 v[60:61], v[186:187], v[60:61]
	v_add_f64 v[26:27], v[26:27], v[236:237]
	;; [unrolled: 1-line block ×3, first 2 shown]
	v_mul_f64 v[236:237], v[0:1], s[42:43]
	v_mul_f64 v[238:239], v[12:13], s[46:47]
	v_add_f64 v[58:59], v[186:187], v[58:59]
	v_add_f64 v[56:57], v[186:187], v[56:57]
	;; [unrolled: 1-line block ×4, first 2 shown]
	v_mul_f64 v[232:233], v[52:53], s[36:37]
	v_mul_f64 v[234:235], v[4:5], s[42:43]
	scratch_store_b64 off, v[58:59], off offset:688 ; 8-byte Folded Spill
	v_add_f64 v[26:27], v[26:27], v[196:197]
	v_add_f64 v[24:25], v[24:25], v[198:199]
	scratch_load_b64 v[196:197], off, off offset:584 ; 8-byte Folded Reload
	v_mul_f64 v[198:199], v[16:17], s[38:39]
	v_add_f64 v[26:27], v[26:27], v[188:189]
	v_add_f64 v[24:25], v[24:25], v[190:191]
	v_dual_mov_b32 v189, v142 :: v_dual_mov_b32 v188, v141
	v_dual_mov_b32 v142, v65 :: v_dual_mov_b32 v141, v64
	v_mul_f64 v[64:65], v[18:19], s[34:35]
	v_dual_mov_b32 v191, v126 :: v_dual_mov_b32 v190, v125
	v_dual_mov_b32 v126, v124 :: v_dual_mov_b32 v125, v123
	;; [unrolled: 1-line block ×4, first 2 shown]
	v_fma_f64 v[208:209], v[14:15], s[28:29], -v[198:199]
	v_fma_f64 v[198:199], v[14:15], s[28:29], v[198:199]
	v_add_f64 v[26:27], v[26:27], v[200:201]
	v_mul_f64 v[200:201], v[16:17], s[36:37]
	v_add_f64 v[24:25], v[24:25], v[202:203]
	v_mul_f64 v[202:203], v[16:17], s[46:47]
	v_fma_f64 v[66:67], v[20:21], s[20:21], v[64:65]
	v_fma_f64 v[64:65], v[20:21], s[20:21], -v[64:65]
	v_add_f64 v[208:209], v[184:185], v[208:209]
	v_add_f64 v[198:199], v[184:185], v[198:199]
	;; [unrolled: 1-line block ×3, first 2 shown]
	v_fma_f64 v[210:211], v[14:15], s[26:27], -v[200:201]
	v_mul_f64 v[192:193], v[18:19], s[24:25]
	v_fma_f64 v[212:213], v[14:15], s[22:23], -v[202:203]
	v_add_f64 v[28:29], v[24:25], v[194:195]
	v_mul_f64 v[24:25], v[18:19], s[48:49]
	v_fma_f64 v[200:201], v[14:15], s[26:27], v[200:201]
	v_fma_f64 v[202:203], v[14:15], s[22:23], v[202:203]
	v_add_f64 v[64:65], v[186:187], v[64:65]
	v_add_f64 v[58:59], v[184:185], v[210:211]
	v_fma_f64 v[194:195], v[20:21], s[18:19], v[192:193]
	v_add_f64 v[218:219], v[184:185], v[200:201]
	v_add_f64 v[220:221], v[184:185], v[202:203]
	;; [unrolled: 1-line block ×3, first 2 shown]
	scratch_store_b64 off, v[58:59], off offset:680 ; 8-byte Folded Spill
	v_add_f64 v[58:59], v[186:187], v[62:63]
	scratch_store_b64 off, v[58:59], off offset:672 ; 8-byte Folded Spill
	v_add_f64 v[58:59], v[184:185], v[212:213]
	;; [unrolled: 2-line block ×5, first 2 shown]
	scratch_store_b128 off, v[26:29], off offset:600 ; 16-byte Folded Spill
	v_mul_f64 v[28:29], v[18:19], s[38:39]
	v_fma_f64 v[26:27], v[20:21], s[30:31], v[24:25]
	v_fma_f64 v[24:25], v[20:21], s[30:31], -v[24:25]
	scratch_store_b64 off, v[58:59], off offset:624 ; 8-byte Folded Spill
	v_fma_f64 v[30:31], v[20:21], s[28:29], v[28:29]
	v_fma_f64 v[28:29], v[20:21], s[28:29], -v[28:29]
	v_fma_f64 v[20:21], v[20:21], s[18:19], -v[192:193]
	v_mul_f64 v[192:193], v[18:19], s[16:17]
	v_mul_f64 v[18:19], v[18:19], s[10:11]
	v_add_f64 v[26:27], v[186:187], v[26:27]
	v_add_f64 v[24:25], v[186:187], v[24:25]
	;; [unrolled: 1-line block ×5, first 2 shown]
	v_add_f64 v[22:23], v[22:23], -v[192:193]
	v_mul_f64 v[192:193], v[14:15], s[8:9]
	v_add_f64 v[18:19], v[190:191], -v[18:19]
	s_delay_alu instid0(VALU_DEP_3) | instskip(SKIP_1) | instid1(VALU_DEP_3)
	v_add_f64 v[194:195], v[186:187], v[22:23]
	s_waitcnt vmcnt(0)
	v_add_f64 v[192:193], v[192:193], v[196:197]
	v_mul_f64 v[196:197], v[16:17], s[48:49]
	v_mul_f64 v[16:17], v[16:17], s[24:25]
	;; [unrolled: 1-line block ×3, first 2 shown]
	v_add_f64 v[224:225], v[186:187], v[18:19]
	v_mul_f64 v[18:19], v[168:169], s[50:51]
	v_add_f64 v[192:193], v[184:185], v[192:193]
	v_fma_f64 v[206:207], v[14:15], s[30:31], -v[196:197]
	v_fma_f64 v[196:197], v[14:15], s[30:31], v[196:197]
	v_fma_f64 v[216:217], v[14:15], s[18:19], -v[16:17]
	v_fma_f64 v[16:17], v[14:15], s[18:19], v[16:17]
	v_mul_f64 v[14:15], v[14:15], s[2:3]
	v_fma_f64 v[20:21], v[34:35], s[2:3], -v[18:19]
	v_fma_f64 v[18:19], v[34:35], s[2:3], v[18:19]
	v_add_f64 v[206:207], v[184:185], v[206:207]
	v_add_f64 v[196:197], v[184:185], v[196:197]
	v_add_f64 v[58:59], v[184:185], v[216:217]
	v_add_f64 v[222:223], v[184:185], v[16:17]
	v_add_f64 v[14:15], v[14:15], v[188:189]
	v_add_f64 v[20:21], v[20:21], v[206:207]
	v_mul_f64 v[206:207], v[54:55], s[54:55]
	v_add_f64 v[18:19], v[18:19], v[196:197]
	s_delay_alu instid0(VALU_DEP_4) | instskip(SKIP_1) | instid1(VALU_DEP_1)
	v_add_f64 v[226:227], v[184:185], v[14:15]
	v_mul_f64 v[14:15], v[32:33], s[50:51]
	v_fma_f64 v[16:17], v[38:39], s[2:3], v[14:15]
	v_fma_f64 v[14:15], v[38:39], s[2:3], -v[14:15]
	s_delay_alu instid0(VALU_DEP_2) | instskip(SKIP_1) | instid1(VALU_DEP_3)
	v_add_f64 v[16:17], v[16:17], v[26:27]
	v_fma_f64 v[26:27], v[46:47], s[28:29], v[22:23]
	v_add_f64 v[14:15], v[14:15], v[24:25]
	v_mul_f64 v[24:25], v[168:169], s[42:43]
	s_delay_alu instid0(VALU_DEP_3) | instskip(SKIP_1) | instid1(VALU_DEP_1)
	v_add_f64 v[16:17], v[26:27], v[16:17]
	v_mul_f64 v[26:27], v[174:175], s[38:39]
	v_fma_f64 v[184:185], v[40:41], s[28:29], -v[26:27]
	s_delay_alu instid0(VALU_DEP_1) | instskip(SKIP_1) | instid1(VALU_DEP_1)
	v_add_f64 v[20:21], v[184:185], v[20:21]
	v_fma_f64 v[184:185], v[36:37], s[8:9], v[206:207]
	v_add_f64 v[16:17], v[184:185], v[16:17]
	v_fma_f64 v[184:185], v[48:49], s[8:9], -v[228:229]
	s_delay_alu instid0(VALU_DEP_1) | instskip(SKIP_1) | instid1(VALU_DEP_1)
	v_add_f64 v[20:21], v[184:185], v[20:21]
	v_fma_f64 v[184:185], v[135:136], s[26:27], v[230:231]
	v_add_f64 v[16:17], v[184:185], v[16:17]
	;; [unrolled: 5-line block ×5, first 2 shown]
	v_mul_f64 v[16:17], v[6:7], s[52:53]
	s_delay_alu instid0(VALU_DEP_1) | instskip(NEXT) | instid1(VALU_DEP_1)
	v_fma_f64 v[184:185], v[117:118], s[20:21], -v[16:17]
	v_add_f64 v[184:185], v[184:185], v[20:21]
	v_fma_f64 v[20:21], v[46:47], s[28:29], -v[22:23]
	v_fma_f64 v[22:23], v[117:118], s[20:21], v[16:17]
	s_delay_alu instid0(VALU_DEP_2) | instskip(SKIP_2) | instid1(VALU_DEP_2)
	v_add_f64 v[14:15], v[20:21], v[14:15]
	v_fma_f64 v[20:21], v[40:41], s[28:29], v[26:27]
	v_mul_f64 v[26:27], v[44:45], s[34:35]
	v_add_f64 v[18:19], v[20:21], v[18:19]
	v_fma_f64 v[20:21], v[36:37], s[8:9], -v[206:207]
	s_delay_alu instid0(VALU_DEP_1) | instskip(SKIP_1) | instid1(VALU_DEP_1)
	v_add_f64 v[14:15], v[20:21], v[14:15]
	v_fma_f64 v[20:21], v[48:49], s[8:9], v[228:229]
	v_add_f64 v[18:19], v[20:21], v[18:19]
	v_fma_f64 v[20:21], v[135:136], s[26:27], -v[230:231]
	s_delay_alu instid0(VALU_DEP_1) | instskip(SKIP_1) | instid1(VALU_DEP_1)
	v_add_f64 v[14:15], v[20:21], v[14:15]
	v_fma_f64 v[20:21], v[50:51], s[26:27], v[232:233]
	;; [unrolled: 5-line block ×3, first 2 shown]
	v_add_f64 v[18:19], v[20:21], v[18:19]
	v_fma_f64 v[20:21], v[115:116], s[22:23], -v[238:239]
	s_delay_alu instid0(VALU_DEP_1) | instskip(SKIP_2) | instid1(VALU_DEP_2)
	v_add_f64 v[14:15], v[20:21], v[14:15]
	v_fma_f64 v[20:21], v[131:132], s[22:23], v[240:241]
	v_mul_f64 v[240:241], v[8:9], s[46:47]
	v_add_f64 v[18:19], v[20:21], v[18:19]
	v_fma_f64 v[20:21], v[119:120], s[20:21], -v[242:243]
	v_mul_f64 v[242:243], v[6:7], s[46:47]
	s_delay_alu instid0(VALU_DEP_2) | instskip(NEXT) | instid1(VALU_DEP_4)
	v_add_f64 v[16:17], v[20:21], v[14:15]
	v_add_f64 v[14:15], v[22:23], v[18:19]
	v_mul_f64 v[22:23], v[32:33], s[42:43]
	v_fma_f64 v[20:21], v[34:35], s[18:19], -v[24:25]
	v_fma_f64 v[24:25], v[34:35], s[18:19], v[24:25]
	s_clause 0x1
	scratch_store_b128 off, v[184:187], off offset:584
	scratch_store_b128 off, v[14:17], off offset:632
	v_fma_f64 v[18:19], v[38:39], s[18:19], v[22:23]
	v_add_f64 v[20:21], v[20:21], v[208:209]
	v_fma_f64 v[22:23], v[38:39], s[18:19], -v[22:23]
	v_add_f64 v[24:25], v[24:25], v[198:199]
	scratch_load_b64 v[14:15], off, off offset:576 ; 8-byte Folded Reload
	v_mul_f64 v[198:199], v[40:41], s[18:19]
	v_add_f64 v[18:19], v[18:19], v[30:31]
	v_fma_f64 v[30:31], v[46:47], s[20:21], v[26:27]
	v_add_f64 v[22:23], v[22:23], v[28:29]
	v_fma_f64 v[26:27], v[46:47], s[20:21], -v[26:27]
	v_fma_f64 v[28:29], v[117:118], s[22:23], v[242:243]
	v_add_f64 v[198:199], v[198:199], v[133:134]
	v_mul_f64 v[133:134], v[42:43], s[44:45]
	v_add_f64 v[18:19], v[30:31], v[18:19]
	v_mul_f64 v[30:31], v[174:175], s[34:35]
	v_add_f64 v[22:23], v[26:27], v[22:23]
	s_delay_alu instid0(VALU_DEP_2) | instskip(SKIP_2) | instid1(VALU_DEP_3)
	v_fma_f64 v[196:197], v[40:41], s[20:21], -v[30:31]
	v_fma_f64 v[26:27], v[40:41], s[20:21], v[30:31]
	v_mul_f64 v[30:31], v[32:33], s[16:17]
	v_add_f64 v[20:21], v[196:197], v[20:21]
	v_mul_f64 v[196:197], v[54:55], s[56:57]
	s_delay_alu instid0(VALU_DEP_4) | instskip(NEXT) | instid1(VALU_DEP_4)
	v_add_f64 v[24:25], v[26:27], v[24:25]
	v_add_f64 v[30:31], v[121:122], -v[30:31]
	v_mov_b32_e32 v121, v93
	s_delay_alu instid0(VALU_DEP_4)
	v_fma_f64 v[206:207], v[36:37], s[26:27], v[196:197]
	v_fma_f64 v[26:27], v[36:37], s[26:27], -v[196:197]
	v_mul_f64 v[196:197], v[48:49], s[20:21]
	v_add_f64 v[30:31], v[30:31], v[224:225]
	v_mul_f64 v[224:225], v[137:138], s[26:27]
	v_add_f64 v[18:19], v[206:207], v[18:19]
	v_mul_f64 v[206:207], v[42:43], s[56:57]
	v_add_f64 v[22:23], v[26:27], v[22:23]
	v_add_f64 v[196:197], v[196:197], v[155:156]
	v_add_f64 v[224:225], v[224:225], v[165:166]
	s_delay_alu instid0(VALU_DEP_4) | instskip(SKIP_2) | instid1(VALU_DEP_3)
	v_fma_f64 v[208:209], v[48:49], s[26:27], -v[206:207]
	v_fma_f64 v[26:27], v[48:49], s[26:27], v[206:207]
	v_mul_f64 v[206:207], v[34:35], s[8:9]
	v_add_f64 v[20:21], v[208:209], v[20:21]
	v_mul_f64 v[208:209], v[2:3], s[10:11]
	s_delay_alu instid0(VALU_DEP_4) | instskip(NEXT) | instid1(VALU_DEP_4)
	v_add_f64 v[24:25], v[26:27], v[24:25]
	v_add_f64 v[206:207], v[206:207], v[143:144]
	s_delay_alu instid0(VALU_DEP_3) | instskip(SKIP_1) | instid1(VALU_DEP_3)
	v_fma_f64 v[228:229], v[135:136], s[2:3], v[208:209]
	v_fma_f64 v[26:27], v[135:136], s[2:3], -v[208:209]
	v_add_f64 v[206:207], v[206:207], v[226:227]
	v_mul_f64 v[208:209], v[2:3], s[46:47]
	v_mul_f64 v[226:227], v[2:3], s[40:41]
	v_add_f64 v[18:19], v[228:229], v[18:19]
	v_mul_f64 v[228:229], v[52:53], s[10:11]
	v_add_f64 v[22:23], v[26:27], v[22:23]
	v_add_f64 v[208:209], v[253:254], -v[208:209]
	s_delay_alu instid0(VALU_DEP_3) | instskip(SKIP_2) | instid1(VALU_DEP_3)
	v_fma_f64 v[230:231], v[50:51], s[2:3], -v[228:229]
	v_fma_f64 v[26:27], v[50:51], s[2:3], v[228:229]
	v_mul_f64 v[228:229], v[50:51], s[22:23]
	v_add_f64 v[20:21], v[230:231], v[20:21]
	v_mul_f64 v[230:231], v[4:5], s[48:49]
	s_delay_alu instid0(VALU_DEP_4) | instskip(NEXT) | instid1(VALU_DEP_4)
	v_add_f64 v[24:25], v[26:27], v[24:25]
	v_add_f64 v[228:229], v[228:229], v[157:158]
	s_delay_alu instid0(VALU_DEP_3) | instskip(SKIP_2) | instid1(VALU_DEP_3)
	v_fma_f64 v[232:233], v[139:140], s[30:31], v[230:231]
	v_fma_f64 v[26:27], v[139:140], s[30:31], -v[230:231]
	v_mul_f64 v[230:231], v[4:5], s[36:37]
	v_add_f64 v[18:19], v[232:233], v[18:19]
	v_mul_f64 v[232:233], v[0:1], s[48:49]
	s_delay_alu instid0(VALU_DEP_4) | instskip(NEXT) | instid1(VALU_DEP_4)
	v_add_f64 v[22:23], v[26:27], v[22:23]
	v_add_f64 v[230:231], v[246:247], -v[230:231]
	v_mul_f64 v[246:247], v[4:5], s[10:11]
	s_delay_alu instid0(VALU_DEP_4) | instskip(SKIP_2) | instid1(VALU_DEP_3)
	v_fma_f64 v[234:235], v[137:138], s[30:31], -v[232:233]
	v_fma_f64 v[26:27], v[137:138], s[30:31], v[232:233]
	v_mul_f64 v[232:233], v[52:53], s[48:49]
	v_add_f64 v[20:21], v[234:235], v[20:21]
	v_mul_f64 v[234:235], v[12:13], s[54:55]
	s_delay_alu instid0(VALU_DEP_4) | instskip(NEXT) | instid1(VALU_DEP_2)
	v_add_f64 v[24:25], v[26:27], v[24:25]
	v_fma_f64 v[236:237], v[115:116], s[8:9], v[234:235]
	v_fma_f64 v[26:27], v[115:116], s[8:9], -v[234:235]
	s_delay_alu instid0(VALU_DEP_2) | instskip(SKIP_1) | instid1(VALU_DEP_3)
	v_add_f64 v[18:19], v[236:237], v[18:19]
	v_mul_f64 v[236:237], v[10:11], s[54:55]
	v_add_f64 v[22:23], v[26:27], v[22:23]
	s_delay_alu instid0(VALU_DEP_2)
	v_fma_f64 v[26:27], v[131:132], s[8:9], v[236:237]
	v_fma_f64 v[238:239], v[131:132], s[8:9], -v[236:237]
	v_dual_mov_b32 v237, v173 :: v_dual_mov_b32 v236, v172
	v_dual_mov_b32 v235, v171 :: v_dual_mov_b32 v234, v170
	;; [unrolled: 1-line block ×6, first 2 shown]
	v_add_f64 v[26:27], v[26:27], v[24:25]
	v_fma_f64 v[24:25], v[119:120], s[22:23], -v[240:241]
	v_add_f64 v[238:239], v[238:239], v[20:21]
	v_fma_f64 v[20:21], v[119:120], s[22:23], v[240:241]
	s_delay_alu instid0(VALU_DEP_4)
	v_add_f64 v[184:185], v[28:29], v[26:27]
	v_mul_f64 v[28:29], v[44:45], s[24:25]
	v_mul_f64 v[26:27], v[54:55], s[34:35]
	v_add_f64 v[186:187], v[24:25], v[22:23]
	v_mul_f64 v[22:23], v[168:169], s[36:37]
	v_dual_mov_b32 v24, v40 :: v_dual_mov_b32 v25, v41
	v_add_f64 v[190:191], v[20:21], v[18:19]
	v_fma_f64 v[18:19], v[117:118], s[22:23], -v[242:243]
	v_mul_f64 v[242:243], v[2:3], s[54:55]
	v_add_f64 v[28:29], v[153:154], -v[28:29]
	v_add_f64 v[26:27], v[163:164], -v[26:27]
	v_dual_mov_b32 v166, v114 :: v_dual_mov_b32 v165, v113
	v_dual_mov_b32 v164, v112 :: v_dual_mov_b32 v163, v111
	;; [unrolled: 1-line block ×3, first 2 shown]
	v_add_f64 v[188:189], v[18:19], v[238:239]
	v_dual_mov_b32 v18, v72 :: v_dual_mov_b32 v19, v73
	v_dual_mov_b32 v20, v74 :: v_dual_mov_b32 v21, v75
	v_mul_f64 v[72:73], v[8:9], s[38:39]
	v_dual_mov_b32 v241, v79 :: v_dual_mov_b32 v240, v78
	v_dual_mov_b32 v239, v77 :: v_dual_mov_b32 v238, v76
	v_mul_f64 v[76:77], v[174:175], s[44:45]
	v_dual_mov_b32 v153, v89 :: v_dual_mov_b32 v152, v88
	v_mul_f64 v[88:89], v[0:1], s[38:39]
	v_mov_b32_e32 v158, v94
	v_add_f64 v[28:29], v[28:29], v[30:31]
	v_add_f64 v[30:31], v[198:199], v[206:207]
	v_mul_f64 v[198:199], v[12:13], s[38:39]
	v_mul_f64 v[206:207], v[117:118], s[30:31]
	v_fma_f64 v[74:75], v[119:120], s[28:29], -v[72:73]
	v_fma_f64 v[78:79], v[24:25], s[22:23], v[76:77]
	v_fma_f64 v[90:91], v[137:138], s[28:29], v[88:89]
	v_add_f64 v[26:27], v[26:27], v[28:29]
	v_add_f64 v[28:29], v[196:197], v[30:31]
	v_mul_f64 v[30:31], v[131:132], s[28:29]
	v_add_f64 v[198:199], v[141:142], -v[198:199]
	v_mul_f64 v[196:197], v[8:9], s[48:49]
	v_add_f64 v[206:207], v[206:207], v[250:251]
	v_mul_f64 v[141:142], v[54:55], s[44:45]
	v_mul_f64 v[250:251], v[12:13], s[34:35]
	v_add_f64 v[26:27], v[208:209], v[26:27]
	v_add_f64 v[28:29], v[228:229], v[28:29]
	;; [unrolled: 1-line block ×3, first 2 shown]
	v_mul_f64 v[208:209], v[40:41], s[26:27]
	v_add_f64 v[196:197], v[127:128], -v[196:197]
	v_mul_f64 v[228:229], v[50:51], s[28:29]
	v_mul_f64 v[40:41], v[32:33], s[36:37]
	v_mul_f64 v[244:245], v[52:53], s[54:55]
	v_dual_mov_b32 v128, v116 :: v_dual_mov_b32 v127, v115
	v_add_f64 v[26:27], v[230:231], v[26:27]
	v_add_f64 v[28:29], v[224:225], v[28:29]
	v_mul_f64 v[230:231], v[4:5], s[44:45]
	v_mul_f64 v[224:225], v[34:35], s[20:21]
	v_add_f64 v[208:209], v[208:209], v[123:124]
	v_add_f64 v[228:229], v[228:229], v[125:126]
	;; [unrolled: 1-line block ×4, first 2 shown]
	v_mul_f64 v[198:199], v[32:33], s[34:35]
	v_add_f64 v[224:225], v[224:225], v[248:249]
	v_mul_f64 v[248:249], v[0:1], s[10:11]
	v_add_f64 v[28:29], v[196:197], v[26:27]
	v_add_f64 v[26:27], v[206:207], v[30:31]
	v_mul_f64 v[30:31], v[54:55], s[48:49]
	v_mul_f64 v[196:197], v[44:45], s[36:37]
	;; [unrolled: 1-line block ×3, first 2 shown]
	v_add_f64 v[198:199], v[129:130], -v[198:199]
	v_add_f64 v[192:193], v[224:225], v[192:193]
	v_mul_f64 v[224:225], v[168:169], s[48:49]
	s_waitcnt vmcnt(0)
	v_add_f64 v[30:31], v[14:15], -v[30:31]
	scratch_load_b64 v[14:15], off, off offset:536 ; 8-byte Folded Reload
	v_add_f64 v[194:195], v[198:199], v[194:195]
	v_mul_f64 v[198:199], v[137:138], s[22:23]
	v_add_f64 v[192:193], v[208:209], v[192:193]
	s_waitcnt vmcnt(0)
	v_add_f64 v[196:197], v[14:15], -v[196:197]
	scratch_load_b64 v[14:15], off, off offset:496 ; 8-byte Folded Reload
	s_clause 0x1
	scratch_store_b64 off, v[58:59], off offset:616
	scratch_store_b128 off, v[180:183], off offset:496
	v_dual_mov_b32 v183, v110 :: v_dual_mov_b32 v182, v109
	v_dual_mov_b32 v181, v108 :: v_dual_mov_b32 v180, v107
	;; [unrolled: 1-line block ×4, first 2 shown]
	v_add_f64 v[194:195], v[196:197], v[194:195]
	v_mul_f64 v[196:197], v[12:13], s[42:43]
	s_delay_alu instid0(VALU_DEP_2)
	v_add_f64 v[30:31], v[30:31], v[194:195]
	v_mul_f64 v[194:195], v[131:132], s[18:19]
	s_waitcnt vmcnt(0)
	v_add_f64 v[206:207], v[206:207], v[14:15]
	scratch_load_b64 v[14:15], off, off offset:544 ; 8-byte Folded Reload
	v_add_f64 v[192:193], v[206:207], v[192:193]
	v_mul_f64 v[206:207], v[8:9], s[50:51]
	s_delay_alu instid0(VALU_DEP_2)
	v_add_f64 v[192:193], v[228:229], v[192:193]
	v_mul_f64 v[228:229], v[10:11], s[48:49]
	s_waitcnt vmcnt(0)
	v_add_f64 v[226:227], v[14:15], -v[226:227]
	scratch_load_b64 v[14:15], off, off offset:552 ; 8-byte Folded Reload
	v_add_f64 v[30:31], v[226:227], v[30:31]
	v_mul_f64 v[226:227], v[12:13], s[48:49]
	s_waitcnt vmcnt(0)
	v_add_f64 v[230:231], v[14:15], -v[230:231]
	scratch_load_b64 v[14:15], off, off offset:512 ; 8-byte Folded Reload
	v_add_f64 v[30:31], v[230:231], v[30:31]
	v_mul_f64 v[230:231], v[2:3], s[48:49]
	s_waitcnt vmcnt(0)
	v_add_f64 v[198:199], v[198:199], v[14:15]
	scratch_load_b64 v[14:15], off, off offset:560 ; 8-byte Folded Reload
	v_add_f64 v[192:193], v[198:199], v[192:193]
	v_mul_f64 v[198:199], v[117:118], s[2:3]
	s_waitcnt vmcnt(0)
	v_add_f64 v[196:197], v[14:15], -v[196:197]
	scratch_load_b64 v[14:15], off, off offset:520 ; 8-byte Folded Reload
	v_add_f64 v[30:31], v[196:197], v[30:31]
	v_fma_f64 v[196:197], v[34:35], s[26:27], v[22:23]
	s_delay_alu instid0(VALU_DEP_1) | instskip(SKIP_2) | instid1(SALU_CYCLE_1)
	v_add_f64 v[196:197], v[196:197], v[222:223]
	v_mul_f64 v[222:223], v[32:33], s[48:49]
	s_mov_b32 s49, 0x3fc7851a
	v_mul_f64 v[156:157], v[44:45], s[48:49]
	v_mul_f64 v[253:254], v[174:175], s[48:49]
	s_waitcnt vmcnt(0)
	v_add_f64 v[194:195], v[194:195], v[14:15]
	scratch_load_b64 v[14:15], off, off offset:568 ; 8-byte Folded Reload
	v_add_f64 v[192:193], v[194:195], v[192:193]
	s_waitcnt vmcnt(0)
	v_add_f64 v[206:207], v[14:15], -v[206:207]
	scratch_load_b64 v[14:15], off, off offset:528 ; 8-byte Folded Reload
	v_add_f64 v[194:195], v[206:207], v[30:31]
	v_fma_f64 v[30:31], v[38:39], s[26:27], -v[40:41]
	s_delay_alu instid0(VALU_DEP_1)
	v_add_f64 v[30:31], v[30:31], v[202:203]
	s_waitcnt vmcnt(0)
	v_add_f64 v[198:199], v[198:199], v[14:15]
	v_dual_mov_b32 v14, v145 :: v_dual_mov_b32 v15, v146
	v_dual_mov_b32 v16, v147 :: v_dual_mov_b32 v17, v148
	;; [unrolled: 1-line block ×4, first 2 shown]
	v_mul_f64 v[80:81], v[42:43], s[50:51]
	v_dual_mov_b32 v151, v87 :: v_dual_mov_b32 v150, v86
	v_dual_mov_b32 v149, v85 :: v_dual_mov_b32 v148, v84
	v_mul_f64 v[84:85], v[52:53], s[24:25]
	v_mul_f64 v[52:53], v[52:53], s[52:53]
	v_add_f64 v[192:193], v[198:199], v[192:193]
	v_fma_f64 v[198:199], v[46:47], s[30:31], -v[156:157]
	v_fma_f64 v[82:83], v[48:49], s[2:3], v[80:81]
	v_fma_f64 v[86:87], v[50:51], s[18:19], v[84:85]
	s_delay_alu instid0(VALU_DEP_3) | instskip(SKIP_1) | instid1(VALU_DEP_1)
	v_add_f64 v[30:31], v[198:199], v[30:31]
	v_fma_f64 v[198:199], v[24:25], s[30:31], v[253:254]
	v_add_f64 v[196:197], v[198:199], v[196:197]
	v_fma_f64 v[198:199], v[36:37], s[22:23], -v[141:142]
	s_delay_alu instid0(VALU_DEP_1) | instskip(SKIP_1) | instid1(VALU_DEP_1)
	v_add_f64 v[30:31], v[198:199], v[30:31]
	v_fma_f64 v[198:199], v[48:49], s[22:23], v[133:134]
	v_add_f64 v[196:197], v[198:199], v[196:197]
	v_fma_f64 v[198:199], v[135:136], s[8:9], -v[242:243]
	s_delay_alu instid0(VALU_DEP_1) | instskip(SKIP_1) | instid1(VALU_DEP_1)
	v_add_f64 v[30:31], v[198:199], v[30:31]
	v_fma_f64 v[198:199], v[50:51], s[8:9], v[244:245]
	v_add_f64 v[196:197], v[198:199], v[196:197]
	v_fma_f64 v[198:199], v[139:140], s[2:3], -v[246:247]
	s_delay_alu instid0(VALU_DEP_1) | instskip(SKIP_1) | instid1(VALU_DEP_1)
	v_add_f64 v[30:31], v[198:199], v[30:31]
	v_fma_f64 v[198:199], v[137:138], s[2:3], v[248:249]
	v_add_f64 v[196:197], v[198:199], v[196:197]
	v_fma_f64 v[198:199], v[115:116], s[20:21], -v[250:251]
	v_dual_mov_b32 v115, v106 :: v_dual_mov_b32 v114, v105
	v_dual_mov_b32 v113, v104 :: v_dual_mov_b32 v112, v103
	;; [unrolled: 1-line block ×4, first 2 shown]
	v_mul_f64 v[68:69], v[10:11], s[34:35]
	v_mov_b32_e32 v116, v92
	v_mul_f64 v[92:93], v[10:11], s[56:57]
	v_dual_mov_b32 v107, v98 :: v_dual_mov_b32 v106, v97
	v_dual_mov_b32 v105, v96 :: v_dual_mov_b32 v104, v95
	v_mul_f64 v[96:97], v[6:7], s[54:55]
	v_add_f64 v[30:31], v[198:199], v[30:31]
	v_fma_f64 v[70:71], v[131:132], s[20:21], v[68:69]
	v_fma_f64 v[94:95], v[131:132], s[26:27], v[92:93]
	s_delay_alu instid0(VALU_DEP_3) | instskip(SKIP_1) | instid1(VALU_DEP_4)
	v_add_f64 v[198:199], v[74:75], v[30:31]
	v_mul_f64 v[74:75], v[6:7], s[38:39]
	v_add_f64 v[70:71], v[70:71], v[196:197]
	s_delay_alu instid0(VALU_DEP_2) | instskip(NEXT) | instid1(VALU_DEP_1)
	v_fma_f64 v[30:31], v[117:118], s[28:29], v[74:75]
	v_add_f64 v[196:197], v[30:31], v[70:71]
	v_fma_f64 v[30:31], v[38:39], s[30:31], -v[222:223]
	v_mul_f64 v[70:71], v[44:45], s[44:45]
	s_delay_alu instid0(VALU_DEP_2) | instskip(SKIP_1) | instid1(VALU_DEP_1)
	v_add_f64 v[30:31], v[30:31], v[64:65]
	v_fma_f64 v[64:65], v[34:35], s[30:31], v[224:225]
	v_add_f64 v[64:65], v[64:65], v[200:201]
	s_delay_alu instid0(VALU_DEP_4) | instskip(NEXT) | instid1(VALU_DEP_2)
	v_fma_f64 v[200:201], v[46:47], s[22:23], -v[70:71]
	v_add_f64 v[64:65], v[78:79], v[64:65]
	v_mul_f64 v[78:79], v[54:55], s[50:51]
	s_delay_alu instid0(VALU_DEP_3) | instskip(NEXT) | instid1(VALU_DEP_3)
	v_add_f64 v[30:31], v[200:201], v[30:31]
	v_add_f64 v[64:65], v[82:83], v[64:65]
	s_delay_alu instid0(VALU_DEP_3) | instskip(SKIP_1) | instid1(VALU_DEP_3)
	v_fma_f64 v[200:201], v[36:37], s[2:3], -v[78:79]
	v_mul_f64 v[82:83], v[2:3], s[24:25]
	v_add_f64 v[64:65], v[86:87], v[64:65]
	s_delay_alu instid0(VALU_DEP_3) | instskip(NEXT) | instid1(VALU_DEP_3)
	v_add_f64 v[30:31], v[200:201], v[30:31]
	v_fma_f64 v[200:201], v[135:136], s[18:19], -v[82:83]
	v_mul_f64 v[86:87], v[4:5], s[38:39]
	s_delay_alu instid0(VALU_DEP_4) | instskip(SKIP_1) | instid1(VALU_DEP_4)
	v_add_f64 v[64:65], v[90:91], v[64:65]
	v_mul_f64 v[90:91], v[12:13], s[56:57]
	v_add_f64 v[30:31], v[200:201], v[30:31]
	s_delay_alu instid0(VALU_DEP_4) | instskip(NEXT) | instid1(VALU_DEP_4)
	v_fma_f64 v[200:201], v[139:140], s[28:29], -v[86:87]
	v_add_f64 v[64:65], v[94:95], v[64:65]
	v_mul_f64 v[94:95], v[8:9], s[54:55]
	s_delay_alu instid0(VALU_DEP_3) | instskip(SKIP_1) | instid1(VALU_DEP_1)
	v_add_f64 v[30:31], v[200:201], v[30:31]
	v_fma_f64 v[200:201], v[127:128], s[26:27], -v[90:91]
	v_add_f64 v[30:31], v[200:201], v[30:31]
	s_delay_alu instid0(VALU_DEP_4) | instskip(NEXT) | instid1(VALU_DEP_1)
	v_fma_f64 v[200:201], v[119:120], s[8:9], -v[94:95]
	v_add_f64 v[202:203], v[200:201], v[30:31]
	v_fma_f64 v[30:31], v[117:118], s[8:9], v[96:97]
	s_delay_alu instid0(VALU_DEP_1) | instskip(SKIP_2) | instid1(VALU_DEP_2)
	v_add_f64 v[200:201], v[30:31], v[64:65]
	v_mul_f64 v[30:31], v[32:33], s[40:41]
	v_mul_f64 v[32:33], v[32:33], s[44:45]
	v_fma_f64 v[64:65], v[38:39], s[28:29], -v[30:31]
	s_delay_alu instid0(VALU_DEP_1) | instskip(SKIP_1) | instid1(VALU_DEP_1)
	v_add_f64 v[60:61], v[64:65], v[60:61]
	v_mul_f64 v[64:65], v[168:169], s[40:41]
	v_fma_f64 v[98:99], v[34:35], s[28:29], v[64:65]
	s_delay_alu instid0(VALU_DEP_1) | instskip(SKIP_2) | instid1(VALU_DEP_2)
	v_add_f64 v[98:99], v[98:99], v[220:221]
	v_mul_f64 v[220:221], v[44:45], s[54:55]
	v_mul_f64 v[44:45], v[44:45], s[10:11]
	v_fma_f64 v[216:217], v[46:47], s[8:9], -v[220:221]
	s_delay_alu instid0(VALU_DEP_1) | instskip(SKIP_2) | instid1(VALU_DEP_2)
	v_add_f64 v[60:61], v[216:217], v[60:61]
	v_mul_f64 v[216:217], v[174:175], s[54:55]
	v_mul_f64 v[174:175], v[174:175], s[10:11]
	v_fma_f64 v[204:205], v[24:25], s[8:9], v[216:217]
	s_delay_alu instid0(VALU_DEP_1) | instskip(SKIP_2) | instid1(VALU_DEP_2)
	v_add_f64 v[98:99], v[204:205], v[98:99]
	v_mul_f64 v[204:205], v[54:55], s[24:25]
	v_mul_f64 v[54:55], v[54:55], s[38:39]
	v_fma_f64 v[214:215], v[36:37], s[18:19], -v[204:205]
	s_delay_alu instid0(VALU_DEP_1) | instskip(SKIP_2) | instid1(VALU_DEP_2)
	v_add_f64 v[60:61], v[214:215], v[60:61]
	v_mul_f64 v[214:215], v[42:43], s[24:25]
	v_mul_f64 v[42:43], v[42:43], s[38:39]
	v_fma_f64 v[66:67], v[48:49], s[18:19], v[214:215]
	s_delay_alu instid0(VALU_DEP_1) | instskip(SKIP_1) | instid1(VALU_DEP_1)
	v_add_f64 v[66:67], v[66:67], v[98:99]
	v_fma_f64 v[98:99], v[135:136], s[30:31], -v[230:231]
	v_add_f64 v[60:61], v[98:99], v[60:61]
	v_fma_f64 v[98:99], v[50:51], s[30:31], v[232:233]
	s_delay_alu instid0(VALU_DEP_1) | instskip(SKIP_2) | instid1(VALU_DEP_2)
	v_add_f64 v[66:67], v[98:99], v[66:67]
	v_mul_f64 v[98:99], v[4:5], s[52:53]
	v_mul_f64 v[4:5], v[4:5], s[16:17]
	v_fma_f64 v[212:213], v[139:140], s[20:21], -v[98:99]
	s_delay_alu instid0(VALU_DEP_1) | instskip(SKIP_1) | instid1(VALU_DEP_1)
	v_add_f64 v[60:61], v[212:213], v[60:61]
	v_mul_f64 v[212:213], v[0:1], s[52:53]
	v_fma_f64 v[62:63], v[137:138], s[20:21], v[212:213]
	s_delay_alu instid0(VALU_DEP_1) | instskip(SKIP_1) | instid1(VALU_DEP_1)
	v_add_f64 v[62:63], v[62:63], v[66:67]
	v_mul_f64 v[66:67], v[12:13], s[10:11]
	v_fma_f64 v[12:13], v[127:128], s[2:3], -v[66:67]
	s_delay_alu instid0(VALU_DEP_1) | instskip(SKIP_1) | instid1(VALU_DEP_1)
	v_add_f64 v[12:13], v[12:13], v[60:61]
	v_mul_f64 v[60:61], v[10:11], s[10:11]
	v_fma_f64 v[10:11], v[131:132], s[2:3], v[60:61]
	s_delay_alu instid0(VALU_DEP_1) | instskip(SKIP_2) | instid1(VALU_DEP_2)
	v_add_f64 v[10:11], v[10:11], v[62:63]
	v_mul_f64 v[62:63], v[8:9], s[36:37]
	v_mul_f64 v[8:9], v[8:9], s[42:43]
	v_fma_f64 v[210:211], v[119:120], s[26:27], -v[62:63]
	s_delay_alu instid0(VALU_DEP_1) | instskip(SKIP_2) | instid1(VALU_DEP_2)
	v_add_f64 v[12:13], v[210:211], v[12:13]
	v_mul_f64 v[210:211], v[6:7], s[36:37]
	v_mul_f64 v[6:7], v[6:7], s[42:43]
	v_fma_f64 v[58:59], v[117:118], s[26:27], v[210:211]
	s_delay_alu instid0(VALU_DEP_1) | instskip(SKIP_2) | instid1(VALU_DEP_2)
	v_add_f64 v[10:11], v[58:59], v[10:11]
	v_fma_f64 v[58:59], v[38:39], s[22:23], -v[32:33]
	v_fma_f64 v[32:33], v[38:39], s[22:23], v[32:33]
	v_add_f64 v[56:57], v[58:59], v[56:57]
	v_mul_f64 v[58:59], v[168:169], s[44:45]
	s_delay_alu instid0(VALU_DEP_1) | instskip(NEXT) | instid1(VALU_DEP_1)
	v_fma_f64 v[168:169], v[34:35], s[22:23], v[58:59]
	v_add_f64 v[168:169], v[168:169], v[218:219]
	v_fma_f64 v[218:219], v[46:47], s[2:3], -v[44:45]
	v_fma_f64 v[44:45], v[46:47], s[2:3], v[44:45]
	s_delay_alu instid0(VALU_DEP_2) | instskip(SKIP_1) | instid1(VALU_DEP_1)
	v_add_f64 v[56:57], v[218:219], v[56:57]
	v_fma_f64 v[218:219], v[24:25], s[2:3], v[174:175]
	v_add_f64 v[168:169], v[218:219], v[168:169]
	v_fma_f64 v[218:219], v[36:37], s[28:29], -v[54:55]
	v_fma_f64 v[54:55], v[36:37], s[28:29], v[54:55]
	s_delay_alu instid0(VALU_DEP_2) | instskip(SKIP_2) | instid1(VALU_DEP_2)
	v_add_f64 v[56:57], v[218:219], v[56:57]
	v_fma_f64 v[218:219], v[48:49], s[28:29], v[42:43]
	v_fma_f64 v[42:43], v[48:49], s[28:29], -v[42:43]
	v_add_f64 v[168:169], v[218:219], v[168:169]
	v_mul_f64 v[218:219], v[2:3], s[52:53]
	s_delay_alu instid0(VALU_DEP_1) | instskip(NEXT) | instid1(VALU_DEP_1)
	v_fma_f64 v[2:3], v[135:136], s[20:21], -v[218:219]
	v_add_f64 v[2:3], v[2:3], v[56:57]
	v_fma_f64 v[56:57], v[50:51], s[20:21], v[52:53]
	s_delay_alu instid0(VALU_DEP_1) | instskip(SKIP_2) | instid1(VALU_DEP_2)
	v_add_f64 v[56:57], v[56:57], v[168:169]
	v_fma_f64 v[168:169], v[139:140], s[8:9], -v[4:5]
	v_fma_f64 v[4:5], v[139:140], s[8:9], v[4:5]
	v_add_f64 v[2:3], v[168:169], v[2:3]
	v_mul_f64 v[168:169], v[0:1], s[16:17]
	s_delay_alu instid0(VALU_DEP_1) | instskip(NEXT) | instid1(VALU_DEP_1)
	v_fma_f64 v[0:1], v[137:138], s[8:9], v[168:169]
	v_add_f64 v[0:1], v[0:1], v[56:57]
	v_fma_f64 v[56:57], v[127:128], s[30:31], -v[226:227]
	s_delay_alu instid0(VALU_DEP_1) | instskip(SKIP_1) | instid1(VALU_DEP_1)
	v_add_f64 v[2:3], v[56:57], v[2:3]
	v_fma_f64 v[56:57], v[131:132], s[30:31], v[228:229]
	v_add_f64 v[0:1], v[56:57], v[0:1]
	v_fma_f64 v[56:57], v[119:120], s[18:19], -v[8:9]
	v_fma_f64 v[8:9], v[119:120], s[18:19], v[8:9]
	s_delay_alu instid0(VALU_DEP_2) | instskip(SKIP_1) | instid1(VALU_DEP_1)
	v_add_f64 v[2:3], v[56:57], v[2:3]
	v_fma_f64 v[56:57], v[117:118], s[18:19], v[6:7]
	v_add_f64 v[0:1], v[56:57], v[0:1]
	scratch_load_b64 v[56:57], off, off offset:688 ; 8-byte Folded Reload
	s_waitcnt vmcnt(0)
	v_add_f64 v[32:33], v[32:33], v[56:57]
	v_fma_f64 v[56:57], v[34:35], s[22:23], -v[58:59]
	scratch_load_b64 v[58:59], off, off offset:680 ; 8-byte Folded Reload
	v_add_f64 v[32:33], v[44:45], v[32:33]
	v_fma_f64 v[44:45], v[24:25], s[2:3], -v[174:175]
	s_delay_alu instid0(VALU_DEP_2) | instskip(SKIP_4) | instid1(VALU_DEP_2)
	v_add_f64 v[32:33], v[54:55], v[32:33]
	v_fma_f64 v[54:55], v[46:47], s[30:31], v[156:157]
	s_waitcnt vmcnt(0)
	v_add_f64 v[56:57], v[56:57], v[58:59]
	v_fma_f64 v[58:59], v[36:37], s[22:23], v[141:142]
	v_add_f64 v[44:45], v[44:45], v[56:57]
	v_fma_f64 v[56:57], v[24:25], s[30:31], -v[253:254]
	s_delay_alu instid0(VALU_DEP_2) | instskip(SKIP_1) | instid1(VALU_DEP_1)
	v_add_f64 v[42:43], v[42:43], v[44:45]
	v_fma_f64 v[44:45], v[135:136], s[20:21], v[218:219]
	v_add_f64 v[32:33], v[44:45], v[32:33]
	v_fma_f64 v[44:45], v[50:51], s[20:21], -v[52:53]
	v_fma_f64 v[52:53], v[117:118], s[8:9], -v[96:97]
	s_delay_alu instid0(VALU_DEP_3) | instskip(NEXT) | instid1(VALU_DEP_3)
	v_add_f64 v[4:5], v[4:5], v[32:33]
	v_add_f64 v[42:43], v[44:45], v[42:43]
	v_fma_f64 v[32:33], v[137:138], s[8:9], -v[168:169]
	scratch_load_b64 v[44:45], off, off offset:648 ; 8-byte Folded Reload
	v_add_f64 v[32:33], v[32:33], v[42:43]
	v_fma_f64 v[42:43], v[127:128], s[30:31], v[226:227]
	s_delay_alu instid0(VALU_DEP_1) | instskip(SKIP_1) | instid1(VALU_DEP_1)
	v_add_f64 v[4:5], v[42:43], v[4:5]
	v_fma_f64 v[42:43], v[131:132], s[30:31], -v[228:229]
	v_add_f64 v[32:33], v[42:43], v[32:33]
	v_fma_f64 v[42:43], v[117:118], s[18:19], -v[6:7]
	s_delay_alu instid0(VALU_DEP_4)
	v_add_f64 v[6:7], v[8:9], v[4:5]
	v_fma_f64 v[8:9], v[38:39], s[28:29], v[30:31]
	scratch_load_b64 v[30:31], off, off offset:672 ; 8-byte Folded Reload
	v_add_f64 v[4:5], v[42:43], v[32:33]
	scratch_load_b64 v[32:33], off, off offset:664 ; 8-byte Folded Reload
	v_fma_f64 v[42:43], v[117:118], s[26:27], -v[210:211]
	s_waitcnt vmcnt(1)
	v_add_f64 v[8:9], v[8:9], v[30:31]
	v_fma_f64 v[30:31], v[34:35], s[28:29], -v[64:65]
	s_waitcnt vmcnt(0)
	s_delay_alu instid0(VALU_DEP_1) | instskip(SKIP_1) | instid1(VALU_DEP_1)
	v_add_f64 v[30:31], v[30:31], v[32:33]
	v_fma_f64 v[32:33], v[46:47], s[8:9], v[220:221]
	v_add_f64 v[8:9], v[32:33], v[8:9]
	v_fma_f64 v[32:33], v[24:25], s[8:9], -v[216:217]
	s_delay_alu instid0(VALU_DEP_1) | instskip(SKIP_1) | instid1(VALU_DEP_1)
	v_add_f64 v[30:31], v[32:33], v[30:31]
	v_fma_f64 v[32:33], v[36:37], s[18:19], v[204:205]
	v_add_f64 v[8:9], v[32:33], v[8:9]
	v_fma_f64 v[32:33], v[48:49], s[18:19], -v[214:215]
	;; [unrolled: 5-line block ×5, first 2 shown]
	s_delay_alu instid0(VALU_DEP_1) | instskip(SKIP_1) | instid1(VALU_DEP_2)
	v_add_f64 v[30:31], v[32:33], v[30:31]
	v_fma_f64 v[32:33], v[119:120], s[26:27], v[62:63]
	v_add_f64 v[30:31], v[42:43], v[30:31]
	scratch_load_b64 v[42:43], off, off offset:656 ; 8-byte Folded Reload
	v_add_f64 v[32:33], v[32:33], v[8:9]
	v_fma_f64 v[8:9], v[38:39], s[30:31], v[222:223]
	s_waitcnt vmcnt(0)
	s_delay_alu instid0(VALU_DEP_1) | instskip(SKIP_1) | instid1(VALU_DEP_1)
	v_add_f64 v[8:9], v[8:9], v[42:43]
	v_fma_f64 v[42:43], v[34:35], s[30:31], -v[224:225]
	v_add_f64 v[42:43], v[42:43], v[44:45]
	v_fma_f64 v[44:45], v[46:47], s[22:23], v[70:71]
	v_fma_f64 v[46:47], v[127:128], s[20:21], v[250:251]
	s_delay_alu instid0(VALU_DEP_2) | instskip(SKIP_1) | instid1(VALU_DEP_1)
	v_add_f64 v[8:9], v[44:45], v[8:9]
	v_fma_f64 v[44:45], v[24:25], s[22:23], -v[76:77]
	v_add_f64 v[42:43], v[44:45], v[42:43]
	v_fma_f64 v[44:45], v[36:37], s[2:3], v[78:79]
	v_dual_mov_b32 v76, v238 :: v_dual_mov_b32 v79, v241
	v_dual_mov_b32 v78, v240 :: v_dual_mov_b32 v77, v239
	s_delay_alu instid0(VALU_DEP_3) | instskip(SKIP_1) | instid1(VALU_DEP_1)
	v_add_f64 v[8:9], v[44:45], v[8:9]
	v_fma_f64 v[44:45], v[48:49], s[2:3], -v[80:81]
	v_add_f64 v[42:43], v[44:45], v[42:43]
	v_fma_f64 v[44:45], v[135:136], s[18:19], v[82:83]
	v_dual_mov_b32 v80, v144 :: v_dual_mov_b32 v83, v147
	v_dual_mov_b32 v81, v145 :: v_dual_mov_b32 v82, v146
	s_delay_alu instid0(VALU_DEP_3) | instskip(SKIP_1) | instid1(VALU_DEP_1)
	v_add_f64 v[8:9], v[44:45], v[8:9]
	v_fma_f64 v[44:45], v[50:51], s[18:19], -v[84:85]
	v_add_f64 v[42:43], v[44:45], v[42:43]
	v_fma_f64 v[44:45], v[139:140], s[28:29], v[86:87]
	v_dual_mov_b32 v84, v148 :: v_dual_mov_b32 v87, v151
	v_dual_mov_b32 v85, v149 :: v_dual_mov_b32 v86, v150
	;; [unrolled: 1-line block ×4, first 2 shown]
	scratch_load_b64 v[14:15], off, off offset:624 ; 8-byte Folded Reload
	v_add_f64 v[8:9], v[44:45], v[8:9]
	v_fma_f64 v[44:45], v[137:138], s[28:29], -v[88:89]
	s_delay_alu instid0(VALU_DEP_1)
	v_add_f64 v[42:43], v[44:45], v[42:43]
	v_fma_f64 v[44:45], v[127:128], s[26:27], v[90:91]
	v_dual_mov_b32 v88, v152 :: v_dual_mov_b32 v91, v155
	v_dual_mov_b32 v89, v153 :: v_dual_mov_b32 v90, v154
	;; [unrolled: 1-line block ×8, first 2 shown]
	v_add_f64 v[8:9], v[44:45], v[8:9]
	v_fma_f64 v[44:45], v[131:132], s[26:27], -v[92:93]
	v_dual_mov_b32 v93, v121 :: v_dual_mov_b32 v92, v116
	s_delay_alu instid0(VALU_DEP_2)
	v_add_f64 v[42:43], v[44:45], v[42:43]
	v_fma_f64 v[44:45], v[119:120], s[8:9], v[94:95]
	v_dual_mov_b32 v94, v158 :: v_dual_mov_b32 v95, v104
	v_dual_mov_b32 v96, v105 :: v_dual_mov_b32 v97, v106
	v_mov_b32_e32 v98, v107
	v_add_f64 v[42:43], v[52:53], v[42:43]
	v_add_f64 v[44:45], v[44:45], v[8:9]
	v_fma_f64 v[8:9], v[38:39], s[26:27], v[40:41]
	v_fma_f64 v[52:53], v[34:35], s[26:27], -v[22:23]
	v_fma_f64 v[34:35], v[135:136], s[8:9], v[242:243]
	v_fma_f64 v[38:39], v[139:140], s[2:3], v[246:247]
	v_fma_f64 v[40:41], v[117:118], s[28:29], -v[74:75]
	s_waitcnt vmcnt(0)
	v_add_f64 v[8:9], v[8:9], v[14:15]
	scratch_load_b64 v[14:15], off, off offset:616 ; 8-byte Folded Reload
	v_add_f64 v[8:9], v[54:55], v[8:9]
	v_fma_f64 v[54:55], v[48:49], s[22:23], -v[133:134]
	s_delay_alu instid0(VALU_DEP_2) | instskip(NEXT) | instid1(VALU_DEP_1)
	v_add_f64 v[8:9], v[58:59], v[8:9]
	v_add_f64 v[8:9], v[34:35], v[8:9]
	v_fma_f64 v[34:35], v[137:138], s[2:3], -v[248:249]
	s_delay_alu instid0(VALU_DEP_2)
	v_add_f64 v[8:9], v[38:39], v[8:9]
	v_fma_f64 v[38:39], v[131:132], s[20:21], -v[68:69]
	v_dual_mov_b32 v68, v100 :: v_dual_mov_b32 v69, v101
	v_dual_mov_b32 v70, v102 :: v_dual_mov_b32 v71, v103
	;; [unrolled: 1-line block ×3, first 2 shown]
	v_mov_b32_e32 v99, v108
	v_dual_mov_b32 v105, v114 :: v_dual_mov_b32 v106, v115
	v_dual_mov_b32 v101, v110 :: v_dual_mov_b32 v100, v109
	v_mov_b32_e32 v102, v111
	v_mov_b32_e32 v111, v163
	v_dual_mov_b32 v113, v165 :: v_dual_mov_b32 v114, v166
	v_mov_b32_e32 v107, v180
	v_dual_mov_b32 v112, v164 :: v_dual_mov_b32 v109, v182
	v_mov_b32_e32 v108, v181
	v_mov_b32_e32 v110, v183
	scratch_load_b128 v[180:183], off, off offset:496 ; 16-byte Folded Reload
	v_add_f64 v[8:9], v[46:47], v[8:9]
	s_waitcnt vmcnt(1)
	v_add_f64 v[52:53], v[52:53], v[14:15]
	scratch_load_b128 v[14:17], off, off offset:600 ; 16-byte Folded Reload
	v_add_f64 v[52:53], v[56:57], v[52:53]
	v_fma_f64 v[56:57], v[50:51], s[8:9], -v[244:245]
	s_delay_alu instid0(VALU_DEP_2) | instskip(NEXT) | instid1(VALU_DEP_1)
	v_add_f64 v[52:53], v[54:55], v[52:53]
	v_add_f64 v[36:37], v[56:57], v[52:53]
	s_delay_alu instid0(VALU_DEP_1) | instskip(SKIP_3) | instid1(VALU_DEP_4)
	v_add_f64 v[34:35], v[34:35], v[36:37]
	v_fma_f64 v[36:37], v[119:120], s[28:29], v[72:73]
	v_dual_mov_b32 v75, v21 :: v_dual_mov_b32 v74, v20
	v_dual_mov_b32 v73, v19 :: v_dual_mov_b32 v72, v18
	v_add_f64 v[34:35], v[38:39], v[34:35]
	s_delay_alu instid0(VALU_DEP_4) | instskip(SKIP_4) | instid1(VALU_DEP_1)
	v_add_f64 v[36:37], v[36:37], v[8:9]
	scratch_load_b32 v8, off, off offset:8  ; 4-byte Folded Reload
	v_add_f64 v[34:35], v[40:41], v[34:35]
	s_waitcnt vmcnt(0)
	v_mul_lo_u16 v8, v8, 17
	v_and_b32_e32 v8, 0xffff, v8
	s_delay_alu instid0(VALU_DEP_1)
	v_lshlrev_b32_e32 v8, 4, v8
	ds_store_b128 v8, v[14:17]
	ds_store_b128 v8, v[26:29] offset:16
	ds_store_b128 v8, v[192:195] offset:32
	;; [unrolled: 1-line block ×7, first 2 shown]
	scratch_load_b128 v[0:3], off, off offset:632 ; 16-byte Folded Reload
	s_waitcnt vmcnt(0)
	ds_store_b128 v8, v[0:3] offset:128
	scratch_load_b128 v[0:3], off, off offset:584 ; 16-byte Folded Reload
	s_waitcnt vmcnt(0)
	ds_store_b128 v8, v[0:3] offset:144
	ds_store_b128 v8, v[188:191] offset:160
	;; [unrolled: 1-line block ×6, first 2 shown]
	scratch_load_b128 v[0:3], off, off offset:12 ; 16-byte Folded Reload
	s_waitcnt vmcnt(0)
	ds_store_b128 v8, v[0:3] offset:240
	ds_store_b128 v8, v[180:183] offset:256
.LBB0_17:
	s_or_b32 exec_lo, exec_lo, s1
	s_waitcnt lgkmcnt(0)
	s_waitcnt_vscnt null, 0x0
	s_barrier
	buffer_gl0_inv
	ds_load_b128 v[0:3], v252 offset:9520
	ds_load_b128 v[4:7], v252 offset:7616
	s_mov_b32 s2, 0xe8584caa
	s_mov_b32 s3, 0xbfebb67a
	;; [unrolled: 1-line block ×10, first 2 shown]
	s_waitcnt lgkmcnt(1)
	v_mul_f64 v[8:9], v[101:102], v[2:3]
	s_delay_alu instid0(VALU_DEP_1) | instskip(SKIP_1) | instid1(VALU_DEP_1)
	v_fma_f64 v[16:17], v[99:100], v[0:1], v[8:9]
	v_mul_f64 v[0:1], v[101:102], v[0:1]
	v_fma_f64 v[18:19], v[99:100], v[2:3], -v[0:1]
	ds_load_b128 v[0:3], v252 offset:19040
	ds_load_b128 v[8:11], v252 offset:20944
	s_waitcnt lgkmcnt(1)
	v_mul_f64 v[12:13], v[97:98], v[2:3]
	s_delay_alu instid0(VALU_DEP_1) | instskip(SKIP_1) | instid1(VALU_DEP_1)
	v_fma_f64 v[20:21], v[95:96], v[0:1], v[12:13]
	v_mul_f64 v[0:1], v[97:98], v[0:1]
	v_fma_f64 v[22:23], v[95:96], v[2:3], -v[0:1]
	ds_load_b128 v[0:3], v252 offset:11424
	ds_load_b128 v[12:15], v252 offset:13328
	s_waitcnt lgkmcnt(1)
	v_mul_f64 v[24:25], v[105:106], v[2:3]
	s_delay_alu instid0(VALU_DEP_1) | instskip(SKIP_1) | instid1(VALU_DEP_1)
	v_fma_f64 v[28:29], v[103:104], v[0:1], v[24:25]
	v_mul_f64 v[0:1], v[105:106], v[0:1]
	v_fma_f64 v[30:31], v[103:104], v[2:3], -v[0:1]
	v_mul_f64 v[0:1], v[109:110], v[10:11]
	s_delay_alu instid0(VALU_DEP_1) | instskip(SKIP_1) | instid1(VALU_DEP_1)
	v_fma_f64 v[32:33], v[107:108], v[8:9], v[0:1]
	v_mul_f64 v[0:1], v[109:110], v[8:9]
	v_fma_f64 v[34:35], v[107:108], v[10:11], -v[0:1]
	scratch_load_b128 v[8:11], off, off offset:60 ; 16-byte Folded Reload
	s_waitcnt vmcnt(0) lgkmcnt(0)
	v_mul_f64 v[0:1], v[10:11], v[14:15]
	s_delay_alu instid0(VALU_DEP_1) | instskip(SKIP_1) | instid1(VALU_DEP_1)
	v_fma_f64 v[36:37], v[8:9], v[12:13], v[0:1]
	v_mul_f64 v[0:1], v[10:11], v[12:13]
	v_fma_f64 v[38:39], v[8:9], v[14:15], -v[0:1]
	ds_load_b128 v[0:3], v252 offset:22848
	ds_load_b128 v[8:11], v252 offset:24752
	scratch_load_b128 v[24:27], off, off offset:44 ; 16-byte Folded Reload
	s_waitcnt vmcnt(0) lgkmcnt(1)
	v_mul_f64 v[12:13], v[26:27], v[2:3]
	s_delay_alu instid0(VALU_DEP_1) | instskip(SKIP_1) | instid1(VALU_DEP_1)
	v_fma_f64 v[40:41], v[24:25], v[0:1], v[12:13]
	v_mul_f64 v[0:1], v[26:27], v[0:1]
	v_fma_f64 v[42:43], v[24:25], v[2:3], -v[0:1]
	ds_load_b128 v[0:3], v252 offset:15232
	ds_load_b128 v[12:15], v252 offset:17136
	scratch_load_b128 v[46:49], off, off offset:196 ; 16-byte Folded Reload
	s_waitcnt vmcnt(0) lgkmcnt(1)
	v_mul_f64 v[24:25], v[48:49], v[2:3]
	s_delay_alu instid0(VALU_DEP_1) | instskip(SKIP_2) | instid1(VALU_DEP_1)
	v_fma_f64 v[44:45], v[46:47], v[0:1], v[24:25]
	scratch_load_b128 v[24:27], off, off offset:180 ; 16-byte Folded Reload
	v_mul_f64 v[0:1], v[48:49], v[0:1]
	v_fma_f64 v[46:47], v[46:47], v[2:3], -v[0:1]
	s_waitcnt vmcnt(0)
	v_mul_f64 v[0:1], v[26:27], v[10:11]
	s_delay_alu instid0(VALU_DEP_1) | instskip(SKIP_1) | instid1(VALU_DEP_1)
	v_fma_f64 v[48:49], v[24:25], v[8:9], v[0:1]
	v_mul_f64 v[0:1], v[26:27], v[8:9]
	v_fma_f64 v[50:51], v[24:25], v[10:11], -v[0:1]
	scratch_load_b128 v[8:11], off, off offset:228 ; 16-byte Folded Reload
	s_waitcnt vmcnt(0) lgkmcnt(0)
	v_mul_f64 v[0:1], v[10:11], v[14:15]
	s_delay_alu instid0(VALU_DEP_1)
	v_fma_f64 v[52:53], v[8:9], v[12:13], v[0:1]
	v_mul_f64 v[0:1], v[10:11], v[12:13]
	scratch_load_b128 v[10:13], off, off offset:212 ; 16-byte Folded Reload
	v_fma_f64 v[54:55], v[8:9], v[14:15], -v[0:1]
	ds_load_b128 v[0:3], v252 offset:26656
	s_waitcnt vmcnt(0) lgkmcnt(0)
	v_mul_f64 v[8:9], v[12:13], v[2:3]
	s_delay_alu instid0(VALU_DEP_1) | instskip(SKIP_2) | instid1(VALU_DEP_2)
	v_fma_f64 v[56:57], v[10:11], v[0:1], v[8:9]
	v_mul_f64 v[0:1], v[12:13], v[0:1]
	v_add_f64 v[12:13], v[16:17], v[20:21]
	v_fma_f64 v[58:59], v[10:11], v[2:3], -v[0:1]
	ds_load_b128 v[0:3], v252
	ds_load_b128 v[8:11], v252 offset:1904
	s_waitcnt lgkmcnt(1)
	v_fma_f64 v[14:15], v[12:13], -0.5, v[0:1]
	v_add_f64 v[12:13], v[18:19], v[22:23]
	v_add_f64 v[0:1], v[0:1], v[16:17]
	s_delay_alu instid0(VALU_DEP_2) | instskip(SKIP_2) | instid1(VALU_DEP_4)
	v_fma_f64 v[24:25], v[12:13], -0.5, v[2:3]
	v_add_f64 v[2:3], v[2:3], v[18:19]
	v_add_f64 v[18:19], v[18:19], -v[22:23]
	v_add_f64 v[0:1], v[0:1], v[20:21]
	v_add_f64 v[20:21], v[16:17], -v[20:21]
	s_delay_alu instid0(VALU_DEP_4) | instskip(NEXT) | instid1(VALU_DEP_4)
	v_add_f64 v[2:3], v[2:3], v[22:23]
	v_fma_f64 v[12:13], v[18:19], s[2:3], v[14:15]
	v_fma_f64 v[16:17], v[18:19], s[8:9], v[14:15]
	s_delay_alu instid0(VALU_DEP_4)
	v_fma_f64 v[14:15], v[20:21], s[8:9], v[24:25]
	v_fma_f64 v[18:19], v[20:21], s[2:3], v[24:25]
	ds_load_b128 v[20:23], v252 offset:3808
	ds_load_b128 v[24:27], v252 offset:5712
	s_waitcnt lgkmcnt(0)
	s_barrier
	buffer_gl0_inv
	scratch_load_b32 v60, off, off offset:252 ; 4-byte Folded Reload
	s_waitcnt vmcnt(0)
	ds_store_b128 v60, v[0:3]
	ds_store_b128 v60, v[12:15] offset:272
	ds_store_b128 v60, v[16:19] offset:544
	v_add_f64 v[0:1], v[28:29], v[32:33]
	v_add_f64 v[16:17], v[28:29], -v[32:33]
	s_delay_alu instid0(VALU_DEP_2) | instskip(SKIP_2) | instid1(VALU_DEP_2)
	v_fma_f64 v[12:13], v[0:1], -0.5, v[8:9]
	v_add_f64 v[0:1], v[30:31], v[34:35]
	v_add_f64 v[8:9], v[8:9], v[28:29]
	v_fma_f64 v[14:15], v[0:1], -0.5, v[10:11]
	v_add_f64 v[0:1], v[10:11], v[30:31]
	v_add_f64 v[10:11], v[30:31], -v[34:35]
	s_delay_alu instid0(VALU_DEP_2) | instskip(SKIP_1) | instid1(VALU_DEP_3)
	v_add_f64 v[2:3], v[0:1], v[34:35]
	v_add_f64 v[0:1], v[8:9], v[32:33]
	v_fma_f64 v[8:9], v[10:11], s[2:3], v[12:13]
	v_fma_f64 v[12:13], v[10:11], s[8:9], v[12:13]
	;; [unrolled: 1-line block ×4, first 2 shown]
	scratch_load_b32 v16, off, off offset:248 ; 4-byte Folded Reload
	s_waitcnt vmcnt(0)
	ds_store_b128 v16, v[0:3]
	ds_store_b128 v16, v[8:11] offset:272
	ds_store_b128 v16, v[12:15] offset:544
	v_add_f64 v[0:1], v[36:37], v[40:41]
	v_add_f64 v[8:9], v[20:21], v[36:37]
	v_add_f64 v[12:13], v[38:39], -v[42:43]
	v_add_f64 v[16:17], v[36:37], -v[40:41]
	s_delay_alu instid0(VALU_DEP_4) | instskip(SKIP_1) | instid1(VALU_DEP_1)
	v_fma_f64 v[10:11], v[0:1], -0.5, v[20:21]
	v_add_f64 v[0:1], v[38:39], v[42:43]
	v_fma_f64 v[14:15], v[0:1], -0.5, v[22:23]
	v_add_f64 v[0:1], v[22:23], v[38:39]
	s_delay_alu instid0(VALU_DEP_1)
	v_add_f64 v[2:3], v[0:1], v[42:43]
	v_add_f64 v[0:1], v[8:9], v[40:41]
	v_fma_f64 v[8:9], v[12:13], s[2:3], v[10:11]
	v_fma_f64 v[12:13], v[12:13], s[8:9], v[10:11]
	;; [unrolled: 1-line block ×4, first 2 shown]
	scratch_load_b32 v16, off, off offset:244 ; 4-byte Folded Reload
	s_waitcnt vmcnt(0)
	ds_store_b128 v16, v[0:3]
	ds_store_b128 v16, v[8:11] offset:272
	ds_store_b128 v16, v[12:15] offset:544
	v_add_f64 v[0:1], v[44:45], v[48:49]
	v_add_f64 v[8:9], v[24:25], v[44:45]
	v_add_f64 v[12:13], v[46:47], -v[50:51]
	v_add_f64 v[16:17], v[44:45], -v[48:49]
	s_delay_alu instid0(VALU_DEP_4) | instskip(SKIP_1) | instid1(VALU_DEP_1)
	v_fma_f64 v[10:11], v[0:1], -0.5, v[24:25]
	v_add_f64 v[0:1], v[46:47], v[50:51]
	v_fma_f64 v[14:15], v[0:1], -0.5, v[26:27]
	v_add_f64 v[0:1], v[26:27], v[46:47]
	s_delay_alu instid0(VALU_DEP_1)
	v_add_f64 v[2:3], v[0:1], v[50:51]
	v_add_f64 v[0:1], v[8:9], v[48:49]
	v_fma_f64 v[8:9], v[12:13], s[2:3], v[10:11]
	v_fma_f64 v[12:13], v[12:13], s[8:9], v[10:11]
	;; [unrolled: 1-line block ×4, first 2 shown]
	scratch_load_b32 v16, off, off offset:176 ; 4-byte Folded Reload
	s_waitcnt vmcnt(0)
	ds_store_b128 v16, v[0:3]
	ds_store_b128 v16, v[8:11] offset:272
	ds_store_b128 v16, v[12:15] offset:544
	v_add_f64 v[0:1], v[52:53], v[56:57]
	v_add_f64 v[12:13], v[52:53], -v[56:57]
	s_delay_alu instid0(VALU_DEP_2) | instskip(SKIP_2) | instid1(VALU_DEP_2)
	v_fma_f64 v[8:9], v[0:1], -0.5, v[4:5]
	v_add_f64 v[0:1], v[54:55], v[58:59]
	v_add_f64 v[4:5], v[4:5], v[52:53]
	v_fma_f64 v[10:11], v[0:1], -0.5, v[6:7]
	v_add_f64 v[0:1], v[6:7], v[54:55]
	v_add_f64 v[6:7], v[54:55], -v[58:59]
	s_delay_alu instid0(VALU_DEP_2) | instskip(SKIP_1) | instid1(VALU_DEP_3)
	v_add_f64 v[2:3], v[0:1], v[58:59]
	v_add_f64 v[0:1], v[4:5], v[56:57]
	v_fma_f64 v[4:5], v[6:7], s[2:3], v[8:9]
	v_fma_f64 v[8:9], v[6:7], s[8:9], v[8:9]
	;; [unrolled: 1-line block ×4, first 2 shown]
	ds_store_b128 v94, v[0:3]
	ds_store_b128 v94, v[4:7] offset:272
	ds_store_b128 v94, v[8:11] offset:544
	s_waitcnt lgkmcnt(0)
	s_barrier
	buffer_gl0_inv
	ds_load_b128 v[4:7], v252 offset:5712
	ds_load_b128 v[0:3], v252 offset:3808
	;; [unrolled: 1-line block ×3, first 2 shown]
	s_mov_b32 s2, 0x4755a5e
	s_mov_b32 s3, 0xbfe2cf23
	;; [unrolled: 1-line block ×4, first 2 shown]
	s_waitcnt lgkmcnt(2)
	v_mul_f64 v[12:13], v[70:71], v[6:7]
	v_mul_f64 v[14:15], v[70:71], v[4:5]
	s_delay_alu instid0(VALU_DEP_2) | instskip(NEXT) | instid1(VALU_DEP_2)
	v_fma_f64 v[24:25], v[68:69], v[4:5], v[12:13]
	v_fma_f64 v[26:27], v[68:69], v[6:7], -v[14:15]
	ds_load_b128 v[4:7], v252 offset:13328
	s_waitcnt lgkmcnt(1)
	v_mul_f64 v[12:13], v[74:75], v[10:11]
	v_mul_f64 v[14:15], v[74:75], v[8:9]
	s_delay_alu instid0(VALU_DEP_2) | instskip(NEXT) | instid1(VALU_DEP_2)
	v_fma_f64 v[28:29], v[72:73], v[8:9], v[12:13]
	v_fma_f64 v[30:31], v[72:73], v[10:11], -v[14:15]
	ds_load_b128 v[8:11], v252 offset:22848
	ds_load_b128 v[12:15], v252 offset:24752
	s_waitcnt lgkmcnt(1)
	v_mul_f64 v[16:17], v[82:83], v[10:11]
	s_delay_alu instid0(VALU_DEP_1) | instskip(SKIP_1) | instid1(VALU_DEP_1)
	v_fma_f64 v[32:33], v[80:81], v[8:9], v[16:17]
	v_mul_f64 v[8:9], v[82:83], v[8:9]
	v_fma_f64 v[34:35], v[80:81], v[10:11], -v[8:9]
	ds_load_b128 v[8:11], v252 offset:17136
	ds_load_b128 v[16:19], v252 offset:15232
	s_waitcnt lgkmcnt(1)
	v_mul_f64 v[20:21], v[78:79], v[10:11]
	v_add_f64 v[72:73], v[26:27], -v[34:35]
	s_delay_alu instid0(VALU_DEP_2) | instskip(SKIP_1) | instid1(VALU_DEP_2)
	v_fma_f64 v[36:37], v[76:77], v[8:9], v[20:21]
	v_mul_f64 v[8:9], v[78:79], v[8:9]
	v_add_f64 v[78:79], v[28:29], -v[36:37]
	s_delay_alu instid0(VALU_DEP_2)
	v_fma_f64 v[38:39], v[76:77], v[10:11], -v[8:9]
	ds_load_b128 v[8:11], v252 offset:7616
	ds_load_b128 v[20:23], v252 offset:9520
	scratch_load_b128 v[42:45], off, off offset:76 ; 16-byte Folded Reload
	v_add_f64 v[76:77], v[24:25], -v[32:33]
	v_add_f64 v[74:75], v[30:31], -v[38:39]
	s_waitcnt vmcnt(0) lgkmcnt(1)
	v_mul_f64 v[40:41], v[44:45], v[10:11]
	s_delay_alu instid0(VALU_DEP_1) | instskip(SKIP_1) | instid1(VALU_DEP_1)
	v_fma_f64 v[40:41], v[42:43], v[8:9], v[40:41]
	v_mul_f64 v[8:9], v[44:45], v[8:9]
	v_fma_f64 v[42:43], v[42:43], v[10:11], -v[8:9]
	v_mul_f64 v[8:9], v[86:87], v[6:7]
	s_delay_alu instid0(VALU_DEP_1) | instskip(SKIP_1) | instid1(VALU_DEP_1)
	v_fma_f64 v[44:45], v[84:85], v[4:5], v[8:9]
	v_mul_f64 v[4:5], v[86:87], v[4:5]
	v_fma_f64 v[46:47], v[84:85], v[6:7], -v[4:5]
	ds_load_b128 v[4:7], v252 offset:19040
	ds_load_b128 v[8:11], v252 offset:20944
	scratch_load_b128 v[50:53], off, off offset:92 ; 16-byte Folded Reload
	s_waitcnt vmcnt(0) lgkmcnt(1)
	v_mul_f64 v[48:49], v[52:53], v[6:7]
	s_delay_alu instid0(VALU_DEP_1) | instskip(SKIP_1) | instid1(VALU_DEP_1)
	v_fma_f64 v[48:49], v[50:51], v[4:5], v[48:49]
	v_mul_f64 v[4:5], v[52:53], v[4:5]
	v_fma_f64 v[50:51], v[50:51], v[6:7], -v[4:5]
	v_mul_f64 v[4:5], v[90:91], v[14:15]
	s_delay_alu instid0(VALU_DEP_1) | instskip(SKIP_1) | instid1(VALU_DEP_1)
	v_fma_f64 v[52:53], v[88:89], v[12:13], v[4:5]
	v_mul_f64 v[4:5], v[90:91], v[12:13]
	v_fma_f64 v[54:55], v[88:89], v[14:15], -v[4:5]
	scratch_load_b128 v[12:15], off, off offset:140 ; 16-byte Folded Reload
	s_waitcnt vmcnt(0)
	v_mul_f64 v[4:5], v[14:15], v[22:23]
	s_delay_alu instid0(VALU_DEP_1) | instskip(SKIP_1) | instid1(VALU_DEP_1)
	v_fma_f64 v[56:57], v[12:13], v[20:21], v[4:5]
	v_mul_f64 v[4:5], v[14:15], v[20:21]
	v_fma_f64 v[58:59], v[12:13], v[22:23], -v[4:5]
	scratch_load_b128 v[12:15], off, off offset:124 ; 16-byte Folded Reload
	s_waitcnt vmcnt(0)
	v_mul_f64 v[4:5], v[14:15], v[18:19]
	v_mul_f64 v[6:7], v[14:15], v[16:17]
	s_delay_alu instid0(VALU_DEP_2) | instskip(NEXT) | instid1(VALU_DEP_2)
	v_fma_f64 v[60:61], v[12:13], v[16:17], v[4:5]
	v_fma_f64 v[62:63], v[12:13], v[18:19], -v[6:7]
	scratch_load_b128 v[16:19], off, off offset:156 ; 16-byte Folded Reload
	ds_load_b128 v[4:7], v252 offset:26656
	s_waitcnt vmcnt(0) lgkmcnt(1)
	v_mul_f64 v[12:13], v[18:19], v[10:11]
	v_mul_f64 v[14:15], v[18:19], v[8:9]
	s_delay_alu instid0(VALU_DEP_2) | instskip(NEXT) | instid1(VALU_DEP_2)
	v_fma_f64 v[64:65], v[16:17], v[8:9], v[12:13]
	v_fma_f64 v[66:67], v[16:17], v[10:11], -v[14:15]
	scratch_load_b128 v[16:19], off, off offset:108 ; 16-byte Folded Reload
	v_add_f64 v[12:13], v[24:25], -v[28:29]
	v_add_f64 v[14:15], v[32:33], -v[36:37]
	s_waitcnt vmcnt(0) lgkmcnt(0)
	v_mul_f64 v[8:9], v[18:19], v[6:7]
	v_mul_f64 v[10:11], v[18:19], v[4:5]
	s_delay_alu instid0(VALU_DEP_3) | instskip(SKIP_1) | instid1(VALU_DEP_4)
	v_add_f64 v[18:19], v[12:13], v[14:15]
	v_add_f64 v[12:13], v[30:31], v[38:39]
	v_fma_f64 v[68:69], v[16:17], v[4:5], v[8:9]
	s_delay_alu instid0(VALU_DEP_4)
	v_fma_f64 v[70:71], v[16:17], v[6:7], -v[10:11]
	v_add_f64 v[8:9], v[26:27], -v[30:31]
	v_add_f64 v[10:11], v[34:35], -v[38:39]
	v_add_f64 v[16:17], v[28:29], v[36:37]
	ds_load_b128 v[4:7], v252
	v_add_f64 v[20:21], v[8:9], v[10:11]
	ds_load_b128 v[8:11], v252 offset:1904
	s_waitcnt lgkmcnt(1)
	v_fma_f64 v[16:17], v[16:17], -0.5, v[4:5]
	v_fma_f64 v[22:23], v[12:13], -0.5, v[6:7]
	s_waitcnt lgkmcnt(0)
	s_barrier
	buffer_gl0_inv
	v_fma_f64 v[12:13], v[72:73], s[10:11], v[16:17]
	v_fma_f64 v[14:15], v[76:77], s[16:17], v[22:23]
	;; [unrolled: 1-line block ×4, first 2 shown]
	s_delay_alu instid0(VALU_DEP_4) | instskip(NEXT) | instid1(VALU_DEP_4)
	v_fma_f64 v[12:13], v[74:75], s[2:3], v[12:13]
	v_fma_f64 v[14:15], v[78:79], s[8:9], v[14:15]
	s_delay_alu instid0(VALU_DEP_4) | instskip(NEXT) | instid1(VALU_DEP_4)
	v_fma_f64 v[16:17], v[74:75], s[8:9], v[16:17]
	v_fma_f64 v[22:23], v[78:79], s[2:3], v[22:23]
	;; [unrolled: 3-line block ×4, first 2 shown]
	v_add_f64 v[20:21], v[24:25], v[32:33]
	v_add_f64 v[22:23], v[26:27], v[34:35]
	s_delay_alu instid0(VALU_DEP_2) | instskip(SKIP_1) | instid1(VALU_DEP_3)
	v_fma_f64 v[20:21], v[20:21], -0.5, v[4:5]
	v_add_f64 v[4:5], v[4:5], v[24:25]
	v_fma_f64 v[22:23], v[22:23], -0.5, v[6:7]
	v_add_f64 v[6:7], v[6:7], v[26:27]
	v_add_f64 v[24:25], v[28:29], -v[24:25]
	v_add_f64 v[26:27], v[30:31], -v[26:27]
	v_add_f64 v[4:5], v[4:5], v[28:29]
	v_add_f64 v[28:29], v[36:37], -v[32:33]
	v_add_f64 v[6:7], v[6:7], v[30:31]
	v_add_f64 v[30:31], v[38:39], -v[34:35]
	s_delay_alu instid0(VALU_DEP_4) | instskip(NEXT) | instid1(VALU_DEP_4)
	v_add_f64 v[4:5], v[4:5], v[36:37]
	v_add_f64 v[24:25], v[24:25], v[28:29]
	s_delay_alu instid0(VALU_DEP_4) | instskip(NEXT) | instid1(VALU_DEP_4)
	v_add_f64 v[6:7], v[6:7], v[38:39]
	v_add_f64 v[26:27], v[26:27], v[30:31]
	s_delay_alu instid0(VALU_DEP_4)
	v_add_f64 v[4:5], v[4:5], v[32:33]
	v_fma_f64 v[32:33], v[74:75], s[16:17], v[20:21]
	v_fma_f64 v[20:21], v[74:75], s[10:11], v[20:21]
	v_add_f64 v[6:7], v[6:7], v[34:35]
	v_fma_f64 v[34:35], v[78:79], s[10:11], v[22:23]
	v_fma_f64 v[22:23], v[78:79], s[16:17], v[22:23]
	v_add_f64 v[74:75], v[46:47], -v[50:51]
	v_add_f64 v[78:79], v[44:45], -v[48:49]
	v_fma_f64 v[28:29], v[72:73], s[2:3], v[32:33]
	v_fma_f64 v[30:31], v[72:73], s[8:9], v[20:21]
	v_add_f64 v[72:73], v[42:43], -v[54:55]
	v_fma_f64 v[32:33], v[76:77], s[8:9], v[34:35]
	v_fma_f64 v[34:35], v[76:77], s[2:3], v[22:23]
	v_add_f64 v[76:77], v[40:41], -v[52:53]
	v_fma_f64 v[20:21], v[24:25], s[18:19], v[28:29]
	v_fma_f64 v[24:25], v[24:25], s[18:19], v[30:31]
	v_add_f64 v[28:29], v[40:41], -v[44:45]
	v_add_f64 v[30:31], v[52:53], -v[48:49]
	v_fma_f64 v[22:23], v[26:27], s[18:19], v[32:33]
	v_fma_f64 v[26:27], v[26:27], s[18:19], v[34:35]
	s_delay_alu instid0(VALU_DEP_3) | instskip(SKIP_2) | instid1(VALU_DEP_1)
	v_add_f64 v[32:33], v[28:29], v[30:31]
	v_add_f64 v[28:29], v[42:43], -v[46:47]
	v_add_f64 v[30:31], v[54:55], -v[50:51]
	v_add_f64 v[34:35], v[28:29], v[30:31]
	v_add_f64 v[28:29], v[44:45], v[48:49]
	s_delay_alu instid0(VALU_DEP_1) | instskip(SKIP_1) | instid1(VALU_DEP_1)
	v_fma_f64 v[36:37], v[28:29], -0.5, v[8:9]
	v_add_f64 v[28:29], v[46:47], v[50:51]
	v_fma_f64 v[38:39], v[28:29], -0.5, v[10:11]
	s_delay_alu instid0(VALU_DEP_3) | instskip(SKIP_1) | instid1(VALU_DEP_3)
	v_fma_f64 v[28:29], v[72:73], s[10:11], v[36:37]
	v_fma_f64 v[36:37], v[72:73], s[16:17], v[36:37]
	v_fma_f64 v[30:31], v[76:77], s[16:17], v[38:39]
	s_delay_alu instid0(VALU_DEP_3) | instskip(SKIP_1) | instid1(VALU_DEP_4)
	v_fma_f64 v[28:29], v[74:75], s[2:3], v[28:29]
	v_fma_f64 v[38:39], v[76:77], s[10:11], v[38:39]
	v_fma_f64 v[36:37], v[74:75], s[8:9], v[36:37]
	s_delay_alu instid0(VALU_DEP_4) | instskip(NEXT) | instid1(VALU_DEP_4)
	v_fma_f64 v[30:31], v[78:79], s[8:9], v[30:31]
	v_fma_f64 v[28:29], v[32:33], s[18:19], v[28:29]
	s_delay_alu instid0(VALU_DEP_4) | instskip(NEXT) | instid1(VALU_DEP_4)
	v_fma_f64 v[38:39], v[78:79], s[2:3], v[38:39]
	v_fma_f64 v[32:33], v[32:33], s[18:19], v[36:37]
	v_add_f64 v[36:37], v[40:41], v[52:53]
	v_fma_f64 v[30:31], v[34:35], s[18:19], v[30:31]
	s_delay_alu instid0(VALU_DEP_4) | instskip(SKIP_1) | instid1(VALU_DEP_4)
	v_fma_f64 v[34:35], v[34:35], s[18:19], v[38:39]
	v_add_f64 v[38:39], v[42:43], v[54:55]
	v_fma_f64 v[36:37], v[36:37], -0.5, v[8:9]
	v_add_f64 v[8:9], v[8:9], v[40:41]
	v_add_f64 v[40:41], v[44:45], -v[40:41]
	s_delay_alu instid0(VALU_DEP_4) | instskip(SKIP_1) | instid1(VALU_DEP_4)
	v_fma_f64 v[38:39], v[38:39], -0.5, v[10:11]
	v_add_f64 v[10:11], v[10:11], v[42:43]
	v_add_f64 v[8:9], v[8:9], v[44:45]
	v_add_f64 v[42:43], v[46:47], -v[42:43]
	v_add_f64 v[44:45], v[48:49], -v[52:53]
	s_delay_alu instid0(VALU_DEP_4) | instskip(NEXT) | instid1(VALU_DEP_4)
	v_add_f64 v[10:11], v[10:11], v[46:47]
	v_add_f64 v[8:9], v[8:9], v[48:49]
	v_add_f64 v[46:47], v[50:51], -v[54:55]
	v_fma_f64 v[48:49], v[74:75], s[16:17], v[36:37]
	v_fma_f64 v[36:37], v[74:75], s[10:11], v[36:37]
	v_add_f64 v[40:41], v[40:41], v[44:45]
	v_add_f64 v[74:75], v[58:59], -v[70:71]
	v_add_f64 v[10:11], v[10:11], v[50:51]
	v_fma_f64 v[50:51], v[78:79], s[10:11], v[38:39]
	v_add_f64 v[42:43], v[42:43], v[46:47]
	v_fma_f64 v[44:45], v[72:73], s[2:3], v[48:49]
	v_fma_f64 v[46:47], v[72:73], s[8:9], v[36:37]
	;; [unrolled: 1-line block ×3, first 2 shown]
	v_add_f64 v[8:9], v[8:9], v[52:53]
	v_add_f64 v[72:73], v[62:63], -v[66:67]
	v_add_f64 v[78:79], v[56:57], -v[68:69]
	v_add_f64 v[10:11], v[10:11], v[54:55]
	v_fma_f64 v[48:49], v[76:77], s[8:9], v[50:51]
	v_fma_f64 v[36:37], v[40:41], s[18:19], v[44:45]
	;; [unrolled: 1-line block ×3, first 2 shown]
	v_add_f64 v[44:45], v[60:61], -v[56:57]
	v_add_f64 v[46:47], v[64:65], -v[68:69]
	v_fma_f64 v[50:51], v[76:77], s[2:3], v[38:39]
	v_add_f64 v[76:77], v[60:61], -v[64:65]
	v_fma_f64 v[38:39], v[42:43], s[18:19], v[48:49]
	s_delay_alu instid0(VALU_DEP_4) | instskip(SKIP_3) | instid1(VALU_DEP_2)
	v_add_f64 v[48:49], v[44:45], v[46:47]
	v_add_f64 v[44:45], v[62:63], -v[58:59]
	v_add_f64 v[46:47], v[66:67], -v[70:71]
	v_fma_f64 v[42:43], v[42:43], s[18:19], v[50:51]
	v_add_f64 v[50:51], v[44:45], v[46:47]
	v_add_f64 v[44:45], v[56:57], v[68:69]
	s_delay_alu instid0(VALU_DEP_1) | instskip(SKIP_1) | instid1(VALU_DEP_1)
	v_fma_f64 v[52:53], v[44:45], -0.5, v[0:1]
	v_add_f64 v[44:45], v[58:59], v[70:71]
	v_fma_f64 v[54:55], v[44:45], -0.5, v[2:3]
	s_delay_alu instid0(VALU_DEP_3) | instskip(SKIP_1) | instid1(VALU_DEP_3)
	v_fma_f64 v[44:45], v[72:73], s[16:17], v[52:53]
	v_fma_f64 v[52:53], v[72:73], s[10:11], v[52:53]
	;; [unrolled: 1-line block ×3, first 2 shown]
	s_delay_alu instid0(VALU_DEP_3) | instskip(NEXT) | instid1(VALU_DEP_3)
	v_fma_f64 v[44:45], v[74:75], s[2:3], v[44:45]
	v_fma_f64 v[52:53], v[74:75], s[8:9], v[52:53]
	;; [unrolled: 1-line block ×3, first 2 shown]
	s_delay_alu instid0(VALU_DEP_4) | instskip(NEXT) | instid1(VALU_DEP_4)
	v_fma_f64 v[46:47], v[78:79], s[8:9], v[46:47]
	v_fma_f64 v[44:45], v[48:49], s[18:19], v[44:45]
	s_delay_alu instid0(VALU_DEP_4) | instskip(SKIP_3) | instid1(VALU_DEP_3)
	v_fma_f64 v[48:49], v[48:49], s[18:19], v[52:53]
	v_add_f64 v[52:53], v[60:61], v[64:65]
	v_fma_f64 v[54:55], v[78:79], s[2:3], v[54:55]
	v_fma_f64 v[46:47], v[50:51], s[18:19], v[46:47]
	v_fma_f64 v[80:81], v[52:53], -0.5, v[0:1]
	v_add_f64 v[52:53], v[62:63], v[66:67]
	v_add_f64 v[0:1], v[0:1], v[56:57]
	v_fma_f64 v[50:51], v[50:51], s[18:19], v[54:55]
	v_add_f64 v[56:57], v[56:57], -v[60:61]
	s_delay_alu instid0(VALU_DEP_4) | instskip(SKIP_4) | instid1(VALU_DEP_4)
	v_fma_f64 v[82:83], v[52:53], -0.5, v[2:3]
	v_add_f64 v[2:3], v[2:3], v[58:59]
	v_add_f64 v[0:1], v[0:1], v[60:61]
	v_add_f64 v[58:59], v[58:59], -v[62:63]
	v_add_f64 v[60:61], v[68:69], -v[64:65]
	v_add_f64 v[2:3], v[2:3], v[62:63]
	s_delay_alu instid0(VALU_DEP_4) | instskip(SKIP_1) | instid1(VALU_DEP_4)
	v_add_f64 v[0:1], v[0:1], v[64:65]
	v_fma_f64 v[62:63], v[74:75], s[16:17], v[80:81]
	v_add_f64 v[60:61], v[56:57], v[60:61]
	v_fma_f64 v[64:65], v[78:79], s[16:17], v[82:83]
	v_add_f64 v[2:3], v[2:3], v[66:67]
	v_add_f64 v[52:53], v[0:1], v[68:69]
	v_add_f64 v[0:1], v[70:71], -v[66:67]
	v_fma_f64 v[66:67], v[78:79], s[10:11], v[82:83]
	s_delay_alu instid0(VALU_DEP_4) | instskip(SKIP_1) | instid1(VALU_DEP_4)
	v_add_f64 v[54:55], v[2:3], v[70:71]
	v_fma_f64 v[2:3], v[74:75], s[10:11], v[80:81]
	v_add_f64 v[68:69], v[58:59], v[0:1]
	v_fma_f64 v[58:59], v[76:77], s[8:9], v[64:65]
	s_delay_alu instid0(VALU_DEP_3) | instskip(SKIP_2) | instid1(VALU_DEP_4)
	v_fma_f64 v[0:1], v[72:73], s[2:3], v[2:3]
	v_fma_f64 v[2:3], v[72:73], s[8:9], v[62:63]
	;; [unrolled: 1-line block ×4, first 2 shown]
	s_delay_alu instid0(VALU_DEP_4) | instskip(NEXT) | instid1(VALU_DEP_4)
	v_fma_f64 v[56:57], v[60:61], s[18:19], v[0:1]
	v_fma_f64 v[0:1], v[60:61], s[18:19], v[2:3]
	scratch_load_b32 v60, off, off offset:172 ; 4-byte Folded Reload
	v_fma_f64 v[2:3], v[68:69], s[18:19], v[62:63]
	s_waitcnt vmcnt(0)
	ds_store_b128 v60, v[4:7]
	ds_store_b128 v60, v[12:15] offset:816
	ds_store_b128 v60, v[20:23] offset:1632
	ds_store_b128 v60, v[24:27] offset:2448
	ds_store_b128 v60, v[16:19] offset:3264
	ds_store_b128 v93, v[8:11]
	ds_store_b128 v93, v[28:31] offset:816
	ds_store_b128 v93, v[36:39] offset:1632
	ds_store_b128 v93, v[40:43] offset:2448
	ds_store_b128 v93, v[32:35] offset:3264
	;; [unrolled: 5-line block ×3, first 2 shown]
	s_waitcnt lgkmcnt(0)
	s_barrier
	buffer_gl0_inv
	ds_load_b128 v[8:11], v252
	ds_load_b128 v[4:7], v252 offset:1904
	ds_load_b128 v[68:71], v252 offset:4080
	;; [unrolled: 1-line block ×13, first 2 shown]
	s_and_saveexec_b32 s1, s0
	s_cbranch_execz .LBB0_19
; %bb.18:
	ds_load_b128 v[0:3], v252 offset:3808
	ds_load_b128 v[32:35], v252 offset:7888
	s_waitcnt lgkmcnt(0)
	scratch_store_b128 off, v[32:35], off offset:12 ; 16-byte Folded Spill
	ds_load_b128 v[180:183], v252 offset:11968
	ds_load_b128 v[159:162], v252 offset:16048
	;; [unrolled: 1-line block ×5, first 2 shown]
	s_waitcnt lgkmcnt(1)
	scratch_store_b128 off, v[32:35], off offset:28 ; 16-byte Folded Spill
.LBB0_19:
	s_or_b32 exec_lo, exec_lo, s1
	s_clause 0x1
	scratch_load_b128 v[100:103], off, off offset:256
	scratch_load_b128 v[135:138], off, off offset:304
	s_waitcnt lgkmcnt(0)
	v_mul_f64 v[84:85], v[151:152], v[66:67]
	v_mul_f64 v[86:87], v[151:152], v[64:65]
	scratch_load_b128 v[151:154], off, off offset:384 ; 16-byte Folded Reload
	s_mov_b32 s16, 0x37e14327
	s_mov_b32 s8, 0x36b3c0b5
	;; [unrolled: 1-line block ×20, first 2 shown]
	s_waitcnt vmcnt(2)
	v_mul_f64 v[32:33], v[102:103], v[70:71]
	v_mul_f64 v[34:35], v[102:103], v[68:69]
	scratch_load_b128 v[102:105], off, off offset:272 ; 16-byte Folded Reload
	s_waitcnt vmcnt(2)
	v_mul_f64 v[40:41], v[137:138], v[82:83]
	v_mul_f64 v[42:43], v[137:138], v[80:81]
	scratch_load_b128 v[137:140], off, off offset:320 ; 16-byte Folded Reload
	v_fma_f64 v[32:33], v[100:101], v[68:69], v[32:33]
	v_fma_f64 v[34:35], v[100:101], v[70:71], -v[34:35]
	v_mul_f64 v[68:69], v[147:148], v[14:15]
	v_fma_f64 v[40:41], v[135:136], v[80:81], v[40:41]
	v_mul_f64 v[70:71], v[147:148], v[12:13]
	v_fma_f64 v[42:43], v[135:136], v[82:83], -v[42:43]
	s_delay_alu instid0(VALU_DEP_4) | instskip(NEXT) | instid1(VALU_DEP_3)
	v_fma_f64 v[12:13], v[145:146], v[12:13], v[68:69]
	v_fma_f64 v[14:15], v[145:146], v[14:15], -v[70:71]
	s_waitcnt vmcnt(1)
	v_mul_f64 v[36:37], v[104:105], v[74:75]
	v_mul_f64 v[38:39], v[104:105], v[72:73]
	scratch_load_b128 v[104:107], off, off offset:288 ; 16-byte Folded Reload
	s_waitcnt vmcnt(1)
	v_mul_f64 v[44:45], v[139:140], v[78:79]
	v_mul_f64 v[46:47], v[139:140], v[76:77]
	scratch_load_b128 v[139:142], off, off offset:352 ; 16-byte Folded Reload
	v_fma_f64 v[36:37], v[102:103], v[72:73], v[36:37]
	v_fma_f64 v[38:39], v[102:103], v[74:75], -v[38:39]
	v_fma_f64 v[44:45], v[137:138], v[76:77], v[44:45]
	v_fma_f64 v[46:47], v[137:138], v[78:79], -v[46:47]
	scratch_load_b128 v[76:79], off, off offset:400 ; 16-byte Folded Reload
	v_mul_f64 v[88:89], v[153:154], v[62:63]
	v_mul_f64 v[90:91], v[153:154], v[60:61]
	s_waitcnt vmcnt(2)
	v_mul_f64 v[92:93], v[106:107], v[22:23]
	v_mul_f64 v[94:95], v[106:107], v[20:21]
	scratch_load_b128 v[106:109], off, off offset:336 ; 16-byte Folded Reload
	s_waitcnt vmcnt(2)
	v_mul_f64 v[48:49], v[141:142], v[30:31]
	v_mul_f64 v[50:51], v[141:142], v[28:29]
	scratch_load_b128 v[141:144], off, off offset:368 ; 16-byte Folded Reload
	v_fma_f64 v[20:21], v[104:105], v[20:21], v[92:93]
	v_fma_f64 v[22:23], v[104:105], v[22:23], -v[94:95]
	s_waitcnt vmcnt(2)
	v_mul_f64 v[72:73], v[78:79], v[18:19]
	v_mul_f64 v[74:75], v[78:79], v[16:17]
	v_fma_f64 v[28:29], v[139:140], v[28:29], v[48:49]
	v_fma_f64 v[30:31], v[139:140], v[30:31], -v[50:51]
	s_delay_alu instid0(VALU_DEP_4) | instskip(NEXT) | instid1(VALU_DEP_4)
	v_fma_f64 v[16:17], v[76:77], v[16:17], v[72:73]
	v_fma_f64 v[18:19], v[76:77], v[18:19], -v[74:75]
	s_waitcnt vmcnt(1)
	v_mul_f64 v[96:97], v[108:109], v[26:27]
	v_mul_f64 v[98:99], v[108:109], v[24:25]
	s_waitcnt vmcnt(0)
	v_mul_f64 v[52:53], v[143:144], v[58:59]
	v_mul_f64 v[54:55], v[143:144], v[56:57]
	s_delay_alu instid0(VALU_DEP_4) | instskip(NEXT) | instid1(VALU_DEP_4)
	v_fma_f64 v[24:25], v[106:107], v[24:25], v[96:97]
	v_fma_f64 v[26:27], v[106:107], v[26:27], -v[98:99]
	s_delay_alu instid0(VALU_DEP_4)
	v_fma_f64 v[48:49], v[141:142], v[56:57], v[52:53]
	v_fma_f64 v[52:53], v[149:150], v[64:65], v[84:85]
	;; [unrolled: 1-line block ×3, first 2 shown]
	v_fma_f64 v[50:51], v[141:142], v[58:59], -v[54:55]
	v_fma_f64 v[54:55], v[149:150], v[66:67], -v[86:87]
	;; [unrolled: 1-line block ×3, first 2 shown]
	v_add_f64 v[60:61], v[32:33], v[40:41]
	v_add_f64 v[64:65], v[36:37], v[44:45]
	;; [unrolled: 1-line block ×4, first 2 shown]
	v_add_f64 v[36:37], v[36:37], -v[44:45]
	v_add_f64 v[38:39], v[38:39], -v[46:47]
	v_add_f64 v[44:45], v[12:13], v[16:17]
	v_add_f64 v[46:47], v[14:15], v[18:19]
	v_add_f64 v[12:13], v[16:17], -v[12:13]
	v_add_f64 v[14:15], v[18:19], -v[14:15]
	v_add_f64 v[76:77], v[20:21], v[24:25]
	v_add_f64 v[78:79], v[22:23], v[26:27]
	;; [unrolled: 4-line block ×3, first 2 shown]
	v_add_f64 v[24:25], v[32:33], -v[40:41]
	v_add_f64 v[70:71], v[30:31], v[54:55]
	v_add_f64 v[74:75], v[50:51], v[58:59]
	v_add_f64 v[26:27], v[34:35], -v[42:43]
	v_add_f64 v[32:33], v[64:65], v[60:61]
	v_add_f64 v[42:43], v[50:51], -v[58:59]
	v_add_f64 v[16:17], v[28:29], -v[52:53]
	v_add_f64 v[34:35], v[66:67], v[62:63]
	v_add_f64 v[40:41], v[48:49], -v[56:57]
	v_add_f64 v[18:19], v[30:31], -v[54:55]
	;; [unrolled: 1-line block ×7, first 2 shown]
	v_add_f64 v[28:29], v[72:73], v[68:69]
	v_add_f64 v[56:57], v[20:21], -v[36:37]
	v_add_f64 v[80:81], v[36:37], -v[24:25]
	v_add_f64 v[30:31], v[74:75], v[70:71]
	v_add_f64 v[82:83], v[38:39], -v[26:27]
	v_add_f64 v[32:33], v[76:77], v[32:33]
	v_add_f64 v[76:77], v[68:69], -v[44:45]
	v_add_f64 v[86:87], v[14:15], -v[42:43]
	v_add_f64 v[34:35], v[78:79], v[34:35]
	v_add_f64 v[78:79], v[70:71], -v[46:47]
	v_add_f64 v[84:85], v[12:13], -v[40:41]
	;; [unrolled: 1-line block ×6, first 2 shown]
	v_add_f64 v[36:37], v[20:21], v[36:37]
	v_add_f64 v[38:39], v[22:23], v[38:39]
	v_add_f64 v[22:23], v[26:27], -v[22:23]
	v_add_f64 v[42:43], v[14:15], v[42:43]
	v_add_f64 v[68:69], v[72:73], -v[68:69]
	v_add_f64 v[20:21], v[24:25], -v[20:21]
	v_add_f64 v[40:41], v[12:13], v[40:41]
	v_add_f64 v[12:13], v[16:17], -v[12:13]
	v_add_f64 v[14:15], v[18:19], -v[14:15]
	;; [unrolled: 1-line block ×3, first 2 shown]
	v_mul_f64 v[48:49], v[48:49], s[16:17]
	v_mul_f64 v[50:51], v[50:51], s[16:17]
	;; [unrolled: 1-line block ×5, first 2 shown]
	v_add_f64 v[28:29], v[44:45], v[28:29]
	v_add_f64 v[44:45], v[44:45], -v[72:73]
	v_mul_f64 v[56:57], v[56:57], s[18:19]
	v_add_f64 v[30:31], v[46:47], v[30:31]
	v_add_f64 v[46:47], v[46:47], -v[74:75]
	v_mul_f64 v[94:95], v[82:83], s[2:3]
	v_add_f64 v[8:9], v[8:9], v[32:33]
	v_mul_f64 v[76:77], v[76:77], s[16:17]
	v_mul_f64 v[86:87], v[86:87], s[18:19]
	v_add_f64 v[10:11], v[10:11], v[34:35]
	v_mul_f64 v[78:79], v[78:79], s[16:17]
	v_mul_f64 v[84:85], v[84:85], s[18:19]
	;; [unrolled: 1-line block ×5, first 2 shown]
	v_add_f64 v[24:25], v[36:37], v[24:25]
	v_add_f64 v[26:27], v[38:39], v[26:27]
	;; [unrolled: 1-line block ×4, first 2 shown]
	v_fma_f64 v[36:37], v[52:53], s[8:9], v[48:49]
	v_fma_f64 v[38:39], v[54:55], s[8:9], v[50:51]
	v_fma_f64 v[48:49], v[60:61], s[22:23], -v[48:49]
	v_fma_f64 v[42:43], v[62:63], s[20:21], -v[66:67]
	v_fma_f64 v[54:55], v[22:23], s[24:25], v[58:59]
	v_add_f64 v[4:5], v[4:5], v[28:29]
	v_mul_f64 v[72:73], v[44:45], s[8:9]
	v_fma_f64 v[52:53], v[20:21], s[24:25], v[56:57]
	v_add_f64 v[6:7], v[6:7], v[30:31]
	v_mul_f64 v[74:75], v[46:47], s[8:9]
	v_fma_f64 v[22:23], v[22:23], s[26:27], -v[94:95]
	v_fma_f64 v[32:33], v[32:33], s[10:11], v[8:9]
	v_fma_f64 v[44:45], v[44:45], s[8:9], v[76:77]
	v_fma_f64 v[66:67], v[90:91], s[2:3], -v[86:87]
	v_fma_f64 v[76:77], v[68:69], s[22:23], -v[76:77]
	v_fma_f64 v[34:35], v[34:35], s[10:11], v[10:11]
	v_fma_f64 v[40:41], v[60:61], s[20:21], -v[64:65]
	v_fma_f64 v[50:51], v[62:63], s[22:23], -v[50:51]
	v_fma_f64 v[46:47], v[46:47], s[8:9], v[78:79]
	v_fma_f64 v[60:61], v[12:13], s[24:25], v[84:85]
	;; [unrolled: 1-line block ×3, first 2 shown]
	v_fma_f64 v[20:21], v[20:21], s[26:27], -v[92:93]
	v_fma_f64 v[12:13], v[12:13], s[26:27], -v[96:97]
	;; [unrolled: 1-line block ×7, first 2 shown]
	v_fma_f64 v[54:55], v[26:27], s[28:29], v[54:55]
	v_fma_f64 v[28:29], v[28:29], s[10:11], v[4:5]
	v_fma_f64 v[68:69], v[68:69], s[20:21], -v[72:73]
	v_fma_f64 v[52:53], v[24:25], s[28:29], v[52:53]
	v_fma_f64 v[30:31], v[30:31], s[10:11], v[6:7]
	v_fma_f64 v[70:71], v[70:71], s[20:21], -v[74:75]
	v_fma_f64 v[74:75], v[26:27], s[28:29], v[22:23]
	v_add_f64 v[48:49], v[48:49], v[32:33]
	v_add_f64 v[36:37], v[36:37], v[32:33]
	v_fma_f64 v[66:67], v[18:19], s[28:29], v[66:67]
	v_add_f64 v[38:39], v[38:39], v[34:35]
	v_add_f64 v[50:51], v[50:51], v[34:35]
	v_fma_f64 v[60:61], v[16:17], s[28:29], v[60:61]
	v_fma_f64 v[62:63], v[18:19], s[28:29], v[62:63]
	v_fma_f64 v[72:73], v[24:25], s[28:29], v[20:21]
	v_fma_f64 v[80:81], v[16:17], s[28:29], v[12:13]
	v_fma_f64 v[82:83], v[18:19], s[28:29], v[14:15]
	v_fma_f64 v[56:57], v[24:25], s[28:29], v[56:57]
	v_fma_f64 v[58:59], v[26:27], s[28:29], v[58:59]
	v_add_f64 v[24:25], v[40:41], v[32:33]
	v_add_f64 v[26:27], v[42:43], v[34:35]
	v_fma_f64 v[64:65], v[16:17], s[28:29], v[64:65]
	v_add_f64 v[84:85], v[44:45], v[28:29]
	v_add_f64 v[68:69], v[68:69], v[28:29]
	;; [unrolled: 1-line block ×7, first 2 shown]
	v_add_f64 v[28:29], v[48:49], -v[74:75]
	v_add_f64 v[12:13], v[54:55], v[36:37]
	v_add_f64 v[32:33], v[36:37], -v[54:55]
	v_add_f64 v[14:15], v[38:39], -v[52:53]
	v_add_f64 v[34:35], v[52:53], v[38:39]
	v_add_f64 v[18:19], v[50:51], -v[72:73]
	v_add_f64 v[30:31], v[72:73], v[50:51]
	v_add_f64 v[20:21], v[24:25], -v[58:59]
	v_add_f64 v[22:23], v[56:57], v[26:27]
	v_add_f64 v[24:25], v[58:59], v[24:25]
	v_add_f64 v[26:27], v[26:27], -v[56:57]
	v_add_f64 v[36:37], v[62:63], v[84:85]
	v_add_f64 v[48:49], v[66:67], v[68:69]
	;; [unrolled: 1-line block ×3, first 2 shown]
	v_add_f64 v[38:39], v[86:87], -v[60:61]
	v_add_f64 v[42:43], v[78:79], -v[80:81]
	;; [unrolled: 1-line block ×3, first 2 shown]
	v_add_f64 v[46:47], v[64:65], v[70:71]
	v_add_f64 v[50:51], v[70:71], -v[64:65]
	v_add_f64 v[52:53], v[76:77], -v[82:83]
	v_add_f64 v[54:55], v[80:81], v[78:79]
	v_add_f64 v[56:57], v[84:85], -v[62:63]
	v_add_f64 v[58:59], v[60:61], v[86:87]
	ds_store_b128 v252, v[8:11]
	ds_store_b128 v252, v[4:7] offset:1904
	ds_store_b128 v252, v[12:15] offset:4080
	;; [unrolled: 1-line block ×13, first 2 shown]
	s_mov_b32 s1, exec_lo
	scratch_load_b32 v48, off, off offset:8 ; 4-byte Folded Reload
	s_and_b32 s0, s1, s0
	s_delay_alu instid0(SALU_CYCLE_1)
	s_mov_b32 exec_lo, s0
	s_cbranch_execz .LBB0_21
; %bb.20:
	s_clause 0x5
	scratch_load_b128 v[40:43], off, off offset:448
	scratch_load_b128 v[28:31], off, off offset:12
	scratch_load_b128 v[36:39], off, off offset:416
	scratch_load_b128 v[32:35], off, off offset:28
	scratch_load_b128 v[49:52], off, off offset:464
	scratch_load_b128 v[44:47], off, off offset:432
	v_mul_f64 v[20:21], v[113:114], v[172:173]
	v_mul_f64 v[26:27], v[113:114], v[170:171]
	s_delay_alu instid0(VALU_DEP_2) | instskip(NEXT) | instid1(VALU_DEP_2)
	v_fma_f64 v[20:21], v[111:112], v[170:171], v[20:21]
	v_fma_f64 v[26:27], v[111:112], v[172:173], -v[26:27]
	s_waitcnt vmcnt(5)
	v_mul_f64 v[4:5], v[42:43], v[176:177]
	s_waitcnt vmcnt(3)
	v_mul_f64 v[6:7], v[38:39], v[28:29]
	;; [unrolled: 2-line block ×3, first 2 shown]
	v_mul_f64 v[18:19], v[51:52], v[34:35]
	scratch_load_b128 v[51:54], off, off offset:480 ; 16-byte Folded Reload
	s_waitcnt vmcnt(1)
	v_mul_f64 v[10:11], v[46:47], v[180:181]
	v_mul_f64 v[12:13], v[38:39], v[30:31]
	;; [unrolled: 1-line block ×4, first 2 shown]
	v_fma_f64 v[4:5], v[40:41], v[178:179], -v[4:5]
	v_fma_f64 v[6:7], v[36:37], v[30:31], -v[6:7]
	;; [unrolled: 1-line block ×3, first 2 shown]
	v_fma_f64 v[18:19], v[49:50], v[32:33], v[18:19]
	v_fma_f64 v[10:11], v[44:45], v[182:183], -v[10:11]
	v_fma_f64 v[12:13], v[36:37], v[28:29], v[12:13]
	v_fma_f64 v[14:15], v[40:41], v[176:177], v[14:15]
	;; [unrolled: 1-line block ×3, first 2 shown]
	v_add_f64 v[28:29], v[6:7], v[4:5]
	v_add_f64 v[4:5], v[6:7], -v[4:5]
	v_add_f64 v[30:31], v[10:11], v[8:9]
	v_add_f64 v[8:9], v[10:11], -v[8:9]
	v_add_f64 v[32:33], v[12:13], v[14:15]
	v_add_f64 v[34:35], v[16:17], v[18:19]
	v_add_f64 v[16:17], v[16:17], -v[18:19]
	v_add_f64 v[12:13], v[12:13], -v[14:15]
	v_add_f64 v[14:15], v[30:31], v[28:29]
	v_add_f64 v[42:43], v[8:9], -v[4:5]
	v_add_f64 v[6:7], v[34:35], v[32:33]
	s_delay_alu instid0(VALU_DEP_4) | instskip(NEXT) | instid1(VALU_DEP_3)
	v_add_f64 v[38:39], v[16:17], -v[12:13]
	v_mul_f64 v[46:47], v[42:43], s[2:3]
	s_waitcnt vmcnt(0)
	v_mul_f64 v[22:23], v[53:54], v[161:162]
	v_mul_f64 v[24:25], v[53:54], v[159:160]
	s_delay_alu instid0(VALU_DEP_2) | instskip(NEXT) | instid1(VALU_DEP_2)
	v_fma_f64 v[22:23], v[51:52], v[159:160], v[22:23]
	v_fma_f64 v[24:25], v[51:52], v[161:162], -v[24:25]
	s_delay_alu instid0(VALU_DEP_2) | instskip(NEXT) | instid1(VALU_DEP_2)
	v_add_f64 v[36:37], v[20:21], -v[22:23]
	v_add_f64 v[18:19], v[24:25], v[26:27]
	v_add_f64 v[20:21], v[22:23], v[20:21]
	v_add_f64 v[22:23], v[26:27], -v[24:25]
	s_delay_alu instid0(VALU_DEP_4) | instskip(NEXT) | instid1(VALU_DEP_4)
	v_add_f64 v[10:11], v[36:37], -v[16:17]
	v_add_f64 v[24:25], v[28:29], -v[18:19]
	s_delay_alu instid0(VALU_DEP_4)
	v_add_f64 v[26:27], v[32:33], -v[20:21]
	v_add_f64 v[14:15], v[18:19], v[14:15]
	v_add_f64 v[18:19], v[18:19], -v[30:31]
	v_add_f64 v[40:41], v[22:23], -v[8:9]
	v_add_f64 v[6:7], v[20:21], v[6:7]
	v_add_f64 v[20:21], v[20:21], -v[34:35]
	v_add_f64 v[44:45], v[12:13], -v[36:37]
	v_add_f64 v[16:17], v[36:37], v[16:17]
	v_add_f64 v[8:9], v[22:23], v[8:9]
	v_mul_f64 v[36:37], v[38:39], s[2:3]
	v_add_f64 v[22:23], v[4:5], -v[22:23]
	v_add_f64 v[28:29], v[30:31], -v[28:29]
	;; [unrolled: 1-line block ×3, first 2 shown]
	v_mul_f64 v[10:11], v[10:11], s[18:19]
	v_mul_f64 v[24:25], v[24:25], s[16:17]
	;; [unrolled: 1-line block ×3, first 2 shown]
	v_add_f64 v[2:3], v[2:3], v[14:15]
	v_mul_f64 v[30:31], v[18:19], s[8:9]
	v_mul_f64 v[40:41], v[40:41], s[18:19]
	v_add_f64 v[0:1], v[0:1], v[6:7]
	v_mul_f64 v[34:35], v[20:21], s[8:9]
	v_add_f64 v[12:13], v[16:17], v[12:13]
	v_add_f64 v[4:5], v[8:9], v[4:5]
	v_fma_f64 v[8:9], v[44:45], s[24:25], v[10:11]
	v_fma_f64 v[16:17], v[18:19], s[8:9], v[24:25]
	;; [unrolled: 1-line block ×3, first 2 shown]
	v_fma_f64 v[20:21], v[44:45], s[26:27], -v[36:37]
	v_fma_f64 v[14:15], v[14:15], s[10:11], v[2:3]
	v_fma_f64 v[24:25], v[28:29], s[22:23], -v[24:25]
	v_fma_f64 v[28:29], v[28:29], s[20:21], -v[30:31]
	v_fma_f64 v[30:31], v[22:23], s[24:25], v[40:41]
	v_fma_f64 v[22:23], v[22:23], s[26:27], -v[46:47]
	;; [unrolled: 3-line block ×3, first 2 shown]
	v_fma_f64 v[10:11], v[38:39], s[2:3], -v[10:11]
	v_fma_f64 v[32:33], v[32:33], s[20:21], -v[34:35]
	v_fma_f64 v[8:9], v[12:13], s[28:29], v[8:9]
	v_fma_f64 v[20:21], v[12:13], s[28:29], v[20:21]
	v_add_f64 v[16:17], v[16:17], v[14:15]
	v_add_f64 v[24:25], v[24:25], v[14:15]
	;; [unrolled: 1-line block ×3, first 2 shown]
	v_fma_f64 v[30:31], v[4:5], s[28:29], v[30:31]
	v_fma_f64 v[34:35], v[4:5], s[28:29], v[22:23]
	;; [unrolled: 1-line block ×3, first 2 shown]
	v_add_f64 v[36:37], v[18:19], v[6:7]
	v_add_f64 v[38:39], v[26:27], v[6:7]
	v_fma_f64 v[12:13], v[12:13], s[28:29], v[10:11]
	v_add_f64 v[32:33], v[32:33], v[6:7]
	v_add_f64 v[26:27], v[16:17], -v[8:9]
	v_add_f64 v[10:11], v[20:21], v[24:25]
	v_add_f64 v[22:23], v[24:25], -v[20:21]
	v_add_f64 v[6:7], v[8:9], v[16:17]
	v_add_f64 v[24:25], v[30:31], v[36:37]
	;; [unrolled: 1-line block ×4, first 2 shown]
	v_add_f64 v[16:17], v[32:33], -v[4:5]
	v_add_f64 v[14:15], v[28:29], -v[12:13]
	v_add_f64 v[12:13], v[4:5], v[32:33]
	v_add_f64 v[8:9], v[38:39], -v[34:35]
	v_add_f64 v[4:5], v[36:37], -v[30:31]
	ds_store_b128 v252, v[0:3] offset:3808
	ds_store_b128 v252, v[24:27] offset:7888
	;; [unrolled: 1-line block ×7, first 2 shown]
.LBB0_21:
	s_or_b32 exec_lo, exec_lo, s1
	s_waitcnt vmcnt(0) lgkmcnt(0)
	s_waitcnt_vscnt null, 0x0
	s_barrier
	buffer_gl0_inv
	s_and_b32 exec_lo, exec_lo, vcc_lo
	s_cbranch_execz .LBB0_23
; %bb.22:
	global_load_b128 v[0:3], v255, s[12:13]
	ds_load_b128 v[4:7], v252
	ds_load_b128 v[8:11], v255 offset:1680
	ds_load_b128 v[12:15], v255 offset:26880
	s_mov_b32 s0, 0x125b8012
	s_mov_b32 s1, 0x3f425b80
	s_mul_i32 s2, s5, 0x690
	s_mul_hi_u32 s3, s4, 0x690
	s_delay_alu instid0(SALU_CYCLE_1) | instskip(SKIP_1) | instid1(VALU_DEP_1)
	s_add_i32 s3, s3, s2
	v_add_co_u32 v22, s2, s12, v255
	v_add_co_ci_u32_e64 v23, null, s13, 0, s2
	s_waitcnt vmcnt(0) lgkmcnt(2)
	v_mul_f64 v[16:17], v[6:7], v[2:3]
	v_mul_f64 v[2:3], v[4:5], v[2:3]
	s_delay_alu instid0(VALU_DEP_2) | instskip(NEXT) | instid1(VALU_DEP_2)
	v_fma_f64 v[4:5], v[4:5], v[0:1], v[16:17]
	v_fma_f64 v[2:3], v[0:1], v[6:7], -v[2:3]
	scratch_load_b64 v[0:1], off, off       ; 8-byte Folded Reload
	v_mad_u64_u32 v[16:17], null, s4, v48, 0
	s_mulk_i32 s4, 0x690
	v_mul_f64 v[2:3], v[2:3], s[0:1]
	s_waitcnt vmcnt(0)
	v_mov_b32_e32 v19, v0
	v_mul_f64 v[0:1], v[4:5], s[0:1]
	s_delay_alu instid0(VALU_DEP_4) | instskip(NEXT) | instid1(VALU_DEP_3)
	v_mov_b32_e32 v5, v17
	v_mad_u64_u32 v[6:7], null, s6, v19, 0
	s_delay_alu instid0(VALU_DEP_1) | instskip(NEXT) | instid1(VALU_DEP_1)
	v_mov_b32_e32 v4, v7
	v_mad_u64_u32 v[17:18], null, s7, v19, v[4:5]
	s_delay_alu instid0(VALU_DEP_3) | instskip(NEXT) | instid1(VALU_DEP_2)
	v_mad_u64_u32 v[18:19], null, s5, v48, v[5:6]
	v_mov_b32_e32 v7, v17
	s_delay_alu instid0(VALU_DEP_2) | instskip(NEXT) | instid1(VALU_DEP_2)
	v_mov_b32_e32 v17, v18
	v_lshlrev_b64 v[4:5], 4, v[6:7]
	s_delay_alu instid0(VALU_DEP_2) | instskip(NEXT) | instid1(VALU_DEP_2)
	v_lshlrev_b64 v[6:7], 4, v[16:17]
	v_add_co_u32 v4, vcc_lo, s14, v4
	s_delay_alu instid0(VALU_DEP_3) | instskip(NEXT) | instid1(VALU_DEP_2)
	v_add_co_ci_u32_e32 v5, vcc_lo, s15, v5, vcc_lo
	v_add_co_u32 v4, vcc_lo, v4, v6
	s_delay_alu instid0(VALU_DEP_2) | instskip(NEXT) | instid1(VALU_DEP_2)
	v_add_co_ci_u32_e32 v5, vcc_lo, v5, v7, vcc_lo
	v_add_co_u32 v16, vcc_lo, v4, s4
	global_store_b128 v[4:5], v[0:3], off
	global_load_b128 v[0:3], v255, s[12:13] offset:1680
	v_add_co_ci_u32_e32 v17, vcc_lo, s3, v5, vcc_lo
	s_waitcnt vmcnt(0) lgkmcnt(1)
	v_mul_f64 v[6:7], v[10:11], v[2:3]
	v_mul_f64 v[2:3], v[8:9], v[2:3]
	s_delay_alu instid0(VALU_DEP_2) | instskip(NEXT) | instid1(VALU_DEP_2)
	v_fma_f64 v[6:7], v[8:9], v[0:1], v[6:7]
	v_fma_f64 v[2:3], v[0:1], v[10:11], -v[2:3]
	s_delay_alu instid0(VALU_DEP_2) | instskip(NEXT) | instid1(VALU_DEP_2)
	v_mul_f64 v[0:1], v[6:7], s[0:1]
	v_mul_f64 v[2:3], v[2:3], s[0:1]
	global_store_b128 v[16:17], v[0:3], off
	global_load_b128 v[0:3], v255, s[12:13] offset:3360
	ds_load_b128 v[4:7], v255 offset:3360
	ds_load_b128 v[8:11], v255 offset:5040
	s_waitcnt vmcnt(0) lgkmcnt(1)
	v_mul_f64 v[18:19], v[6:7], v[2:3]
	v_mul_f64 v[2:3], v[4:5], v[2:3]
	s_delay_alu instid0(VALU_DEP_2) | instskip(NEXT) | instid1(VALU_DEP_2)
	v_fma_f64 v[4:5], v[4:5], v[0:1], v[18:19]
	v_fma_f64 v[2:3], v[0:1], v[6:7], -v[2:3]
	s_delay_alu instid0(VALU_DEP_2) | instskip(NEXT) | instid1(VALU_DEP_2)
	v_mul_f64 v[0:1], v[4:5], s[0:1]
	v_mul_f64 v[2:3], v[2:3], s[0:1]
	v_add_co_u32 v4, vcc_lo, v16, s4
	v_add_co_ci_u32_e32 v5, vcc_lo, s3, v17, vcc_lo
	v_add_co_u32 v6, vcc_lo, 0x1000, v22
	v_add_co_ci_u32_e32 v7, vcc_lo, 0, v23, vcc_lo
	global_store_b128 v[4:5], v[0:3], off
	global_load_b128 v[0:3], v[6:7], off offset:944
	s_waitcnt vmcnt(0) lgkmcnt(0)
	v_mul_f64 v[16:17], v[10:11], v[2:3]
	v_mul_f64 v[2:3], v[8:9], v[2:3]
	s_delay_alu instid0(VALU_DEP_2) | instskip(NEXT) | instid1(VALU_DEP_2)
	v_fma_f64 v[8:9], v[8:9], v[0:1], v[16:17]
	v_fma_f64 v[2:3], v[0:1], v[10:11], -v[2:3]
	v_add_co_u32 v16, vcc_lo, v4, s4
	v_add_co_ci_u32_e32 v17, vcc_lo, s3, v5, vcc_lo
	s_delay_alu instid0(VALU_DEP_4) | instskip(NEXT) | instid1(VALU_DEP_4)
	v_mul_f64 v[0:1], v[8:9], s[0:1]
	v_mul_f64 v[2:3], v[2:3], s[0:1]
	global_store_b128 v[16:17], v[0:3], off
	global_load_b128 v[0:3], v[6:7], off offset:2624
	ds_load_b128 v[4:7], v255 offset:6720
	ds_load_b128 v[8:11], v255 offset:8400
	s_waitcnt vmcnt(0) lgkmcnt(1)
	v_mul_f64 v[18:19], v[6:7], v[2:3]
	v_mul_f64 v[2:3], v[4:5], v[2:3]
	s_delay_alu instid0(VALU_DEP_2) | instskip(NEXT) | instid1(VALU_DEP_2)
	v_fma_f64 v[4:5], v[4:5], v[0:1], v[18:19]
	v_fma_f64 v[2:3], v[0:1], v[6:7], -v[2:3]
	s_delay_alu instid0(VALU_DEP_2) | instskip(NEXT) | instid1(VALU_DEP_2)
	v_mul_f64 v[0:1], v[4:5], s[0:1]
	v_mul_f64 v[2:3], v[2:3], s[0:1]
	v_add_co_u32 v4, vcc_lo, v16, s4
	v_add_co_ci_u32_e32 v5, vcc_lo, s3, v17, vcc_lo
	v_add_co_u32 v16, vcc_lo, 0x2000, v22
	v_add_co_ci_u32_e32 v17, vcc_lo, 0, v23, vcc_lo
	s_delay_alu instid0(VALU_DEP_4) | instskip(NEXT) | instid1(VALU_DEP_4)
	v_add_co_u32 v18, vcc_lo, v4, s4
	v_add_co_ci_u32_e32 v19, vcc_lo, s3, v5, vcc_lo
	global_store_b128 v[4:5], v[0:3], off
	global_load_b128 v[0:3], v[16:17], off offset:208
	s_waitcnt vmcnt(0) lgkmcnt(0)
	v_mul_f64 v[6:7], v[10:11], v[2:3]
	v_mul_f64 v[2:3], v[8:9], v[2:3]
	s_delay_alu instid0(VALU_DEP_2) | instskip(NEXT) | instid1(VALU_DEP_2)
	v_fma_f64 v[6:7], v[8:9], v[0:1], v[6:7]
	v_fma_f64 v[2:3], v[0:1], v[10:11], -v[2:3]
	s_delay_alu instid0(VALU_DEP_2) | instskip(NEXT) | instid1(VALU_DEP_2)
	v_mul_f64 v[0:1], v[6:7], s[0:1]
	v_mul_f64 v[2:3], v[2:3], s[0:1]
	global_store_b128 v[18:19], v[0:3], off
	global_load_b128 v[0:3], v[16:17], off offset:1888
	ds_load_b128 v[4:7], v255 offset:10080
	ds_load_b128 v[8:11], v255 offset:11760
	s_waitcnt vmcnt(0) lgkmcnt(1)
	v_mul_f64 v[20:21], v[6:7], v[2:3]
	v_mul_f64 v[2:3], v[4:5], v[2:3]
	s_delay_alu instid0(VALU_DEP_2) | instskip(NEXT) | instid1(VALU_DEP_2)
	v_fma_f64 v[4:5], v[4:5], v[0:1], v[20:21]
	v_fma_f64 v[2:3], v[0:1], v[6:7], -v[2:3]
	s_delay_alu instid0(VALU_DEP_2) | instskip(NEXT) | instid1(VALU_DEP_2)
	v_mul_f64 v[0:1], v[4:5], s[0:1]
	v_mul_f64 v[2:3], v[2:3], s[0:1]
	v_add_co_u32 v4, vcc_lo, v18, s4
	v_add_co_ci_u32_e32 v5, vcc_lo, s3, v19, vcc_lo
	global_store_b128 v[4:5], v[0:3], off
	global_load_b128 v[0:3], v[16:17], off offset:3568
	v_add_co_u32 v16, vcc_lo, v4, s4
	v_add_co_ci_u32_e32 v17, vcc_lo, s3, v5, vcc_lo
	v_add_co_u32 v18, vcc_lo, 0x3000, v22
	v_add_co_ci_u32_e32 v19, vcc_lo, 0, v23, vcc_lo
	s_waitcnt vmcnt(0) lgkmcnt(0)
	v_mul_f64 v[6:7], v[10:11], v[2:3]
	v_mul_f64 v[2:3], v[8:9], v[2:3]
	s_delay_alu instid0(VALU_DEP_2) | instskip(NEXT) | instid1(VALU_DEP_2)
	v_fma_f64 v[6:7], v[8:9], v[0:1], v[6:7]
	v_fma_f64 v[2:3], v[0:1], v[10:11], -v[2:3]
	s_delay_alu instid0(VALU_DEP_2) | instskip(NEXT) | instid1(VALU_DEP_2)
	v_mul_f64 v[0:1], v[6:7], s[0:1]
	v_mul_f64 v[2:3], v[2:3], s[0:1]
	global_store_b128 v[16:17], v[0:3], off
	global_load_b128 v[0:3], v[18:19], off offset:1152
	ds_load_b128 v[4:7], v255 offset:13440
	ds_load_b128 v[8:11], v255 offset:15120
	s_waitcnt vmcnt(0) lgkmcnt(1)
	v_mul_f64 v[20:21], v[6:7], v[2:3]
	v_mul_f64 v[2:3], v[4:5], v[2:3]
	s_delay_alu instid0(VALU_DEP_2) | instskip(NEXT) | instid1(VALU_DEP_2)
	v_fma_f64 v[4:5], v[4:5], v[0:1], v[20:21]
	v_fma_f64 v[2:3], v[0:1], v[6:7], -v[2:3]
	s_delay_alu instid0(VALU_DEP_2) | instskip(NEXT) | instid1(VALU_DEP_2)
	v_mul_f64 v[0:1], v[4:5], s[0:1]
	v_mul_f64 v[2:3], v[2:3], s[0:1]
	v_add_co_u32 v4, vcc_lo, v16, s4
	v_add_co_ci_u32_e32 v5, vcc_lo, s3, v17, vcc_lo
	s_delay_alu instid0(VALU_DEP_2) | instskip(NEXT) | instid1(VALU_DEP_2)
	v_add_co_u32 v16, vcc_lo, v4, s4
	v_add_co_ci_u32_e32 v17, vcc_lo, s3, v5, vcc_lo
	global_store_b128 v[4:5], v[0:3], off
	global_load_b128 v[0:3], v[18:19], off offset:2832
	v_add_co_u32 v18, vcc_lo, 0x4000, v22
	v_add_co_ci_u32_e32 v19, vcc_lo, 0, v23, vcc_lo
	s_waitcnt vmcnt(0) lgkmcnt(0)
	v_mul_f64 v[6:7], v[10:11], v[2:3]
	v_mul_f64 v[2:3], v[8:9], v[2:3]
	s_delay_alu instid0(VALU_DEP_2) | instskip(NEXT) | instid1(VALU_DEP_2)
	v_fma_f64 v[6:7], v[8:9], v[0:1], v[6:7]
	v_fma_f64 v[2:3], v[0:1], v[10:11], -v[2:3]
	s_delay_alu instid0(VALU_DEP_2) | instskip(NEXT) | instid1(VALU_DEP_2)
	v_mul_f64 v[0:1], v[6:7], s[0:1]
	v_mul_f64 v[2:3], v[2:3], s[0:1]
	global_store_b128 v[16:17], v[0:3], off
	global_load_b128 v[0:3], v[18:19], off offset:416
	ds_load_b128 v[4:7], v255 offset:16800
	ds_load_b128 v[8:11], v255 offset:18480
	s_waitcnt vmcnt(0) lgkmcnt(1)
	v_mul_f64 v[20:21], v[6:7], v[2:3]
	v_mul_f64 v[2:3], v[4:5], v[2:3]
	s_delay_alu instid0(VALU_DEP_2) | instskip(NEXT) | instid1(VALU_DEP_2)
	v_fma_f64 v[4:5], v[4:5], v[0:1], v[20:21]
	v_fma_f64 v[2:3], v[0:1], v[6:7], -v[2:3]
	s_delay_alu instid0(VALU_DEP_2) | instskip(NEXT) | instid1(VALU_DEP_2)
	v_mul_f64 v[0:1], v[4:5], s[0:1]
	v_mul_f64 v[2:3], v[2:3], s[0:1]
	v_add_co_u32 v4, vcc_lo, v16, s4
	v_add_co_ci_u32_e32 v5, vcc_lo, s3, v17, vcc_lo
	s_delay_alu instid0(VALU_DEP_2) | instskip(NEXT) | instid1(VALU_DEP_2)
	v_add_co_u32 v16, vcc_lo, v4, s4
	v_add_co_ci_u32_e32 v17, vcc_lo, s3, v5, vcc_lo
	global_store_b128 v[4:5], v[0:3], off
	global_load_b128 v[0:3], v[18:19], off offset:2096
	s_waitcnt vmcnt(0) lgkmcnt(0)
	v_mul_f64 v[6:7], v[10:11], v[2:3]
	v_mul_f64 v[2:3], v[8:9], v[2:3]
	s_delay_alu instid0(VALU_DEP_2) | instskip(NEXT) | instid1(VALU_DEP_2)
	v_fma_f64 v[6:7], v[8:9], v[0:1], v[6:7]
	v_fma_f64 v[2:3], v[0:1], v[10:11], -v[2:3]
	s_delay_alu instid0(VALU_DEP_2) | instskip(NEXT) | instid1(VALU_DEP_2)
	v_mul_f64 v[0:1], v[6:7], s[0:1]
	v_mul_f64 v[2:3], v[2:3], s[0:1]
	global_store_b128 v[16:17], v[0:3], off
	global_load_b128 v[0:3], v[18:19], off offset:3776
	ds_load_b128 v[4:7], v255 offset:20160
	ds_load_b128 v[8:11], v255 offset:21840
	s_waitcnt vmcnt(0) lgkmcnt(1)
	v_mul_f64 v[18:19], v[6:7], v[2:3]
	v_mul_f64 v[2:3], v[4:5], v[2:3]
	s_delay_alu instid0(VALU_DEP_2) | instskip(NEXT) | instid1(VALU_DEP_2)
	v_fma_f64 v[4:5], v[4:5], v[0:1], v[18:19]
	v_fma_f64 v[2:3], v[0:1], v[6:7], -v[2:3]
	s_delay_alu instid0(VALU_DEP_2) | instskip(NEXT) | instid1(VALU_DEP_2)
	v_mul_f64 v[0:1], v[4:5], s[0:1]
	v_mul_f64 v[2:3], v[2:3], s[0:1]
	v_add_co_u32 v4, vcc_lo, v16, s4
	v_add_co_ci_u32_e32 v5, vcc_lo, s3, v17, vcc_lo
	v_add_co_u32 v6, vcc_lo, 0x5000, v22
	v_add_co_ci_u32_e32 v7, vcc_lo, 0, v23, vcc_lo
	global_store_b128 v[4:5], v[0:3], off
	global_load_b128 v[0:3], v[6:7], off offset:1360
	s_waitcnt vmcnt(0) lgkmcnt(0)
	v_mul_f64 v[16:17], v[10:11], v[2:3]
	v_mul_f64 v[2:3], v[8:9], v[2:3]
	s_delay_alu instid0(VALU_DEP_2) | instskip(NEXT) | instid1(VALU_DEP_2)
	v_fma_f64 v[8:9], v[8:9], v[0:1], v[16:17]
	v_fma_f64 v[2:3], v[0:1], v[10:11], -v[2:3]
	v_add_co_u32 v16, vcc_lo, v4, s4
	v_add_co_ci_u32_e32 v17, vcc_lo, s3, v5, vcc_lo
	s_delay_alu instid0(VALU_DEP_4) | instskip(NEXT) | instid1(VALU_DEP_4)
	v_mul_f64 v[0:1], v[8:9], s[0:1]
	v_mul_f64 v[2:3], v[2:3], s[0:1]
	global_store_b128 v[16:17], v[0:3], off
	global_load_b128 v[0:3], v[6:7], off offset:3040
	ds_load_b128 v[4:7], v255 offset:23520
	ds_load_b128 v[8:11], v255 offset:25200
	s_waitcnt vmcnt(0) lgkmcnt(1)
	v_mul_f64 v[18:19], v[6:7], v[2:3]
	v_mul_f64 v[2:3], v[4:5], v[2:3]
	s_delay_alu instid0(VALU_DEP_2) | instskip(NEXT) | instid1(VALU_DEP_2)
	v_fma_f64 v[4:5], v[4:5], v[0:1], v[18:19]
	v_fma_f64 v[2:3], v[0:1], v[6:7], -v[2:3]
	s_delay_alu instid0(VALU_DEP_2) | instskip(NEXT) | instid1(VALU_DEP_2)
	v_mul_f64 v[0:1], v[4:5], s[0:1]
	v_mul_f64 v[2:3], v[2:3], s[0:1]
	v_add_co_u32 v4, vcc_lo, v16, s4
	v_add_co_ci_u32_e32 v5, vcc_lo, s3, v17, vcc_lo
	v_add_co_u32 v6, vcc_lo, 0x6000, v22
	v_add_co_ci_u32_e32 v7, vcc_lo, 0, v23, vcc_lo
	global_store_b128 v[4:5], v[0:3], off
	global_load_b128 v[0:3], v[6:7], off offset:624
	v_add_co_u32 v4, vcc_lo, v4, s4
	v_add_co_ci_u32_e32 v5, vcc_lo, s3, v5, vcc_lo
	s_waitcnt vmcnt(0) lgkmcnt(0)
	v_mul_f64 v[16:17], v[10:11], v[2:3]
	v_mul_f64 v[2:3], v[8:9], v[2:3]
	s_delay_alu instid0(VALU_DEP_2) | instskip(NEXT) | instid1(VALU_DEP_2)
	v_fma_f64 v[8:9], v[8:9], v[0:1], v[16:17]
	v_fma_f64 v[2:3], v[0:1], v[10:11], -v[2:3]
	s_delay_alu instid0(VALU_DEP_2) | instskip(NEXT) | instid1(VALU_DEP_2)
	v_mul_f64 v[0:1], v[8:9], s[0:1]
	v_mul_f64 v[2:3], v[2:3], s[0:1]
	global_store_b128 v[4:5], v[0:3], off
	global_load_b128 v[0:3], v[6:7], off offset:2304
	v_add_co_u32 v4, vcc_lo, v4, s4
	v_add_co_ci_u32_e32 v5, vcc_lo, s3, v5, vcc_lo
	s_waitcnt vmcnt(0)
	v_mul_f64 v[6:7], v[14:15], v[2:3]
	v_mul_f64 v[2:3], v[12:13], v[2:3]
	s_delay_alu instid0(VALU_DEP_2) | instskip(NEXT) | instid1(VALU_DEP_2)
	v_fma_f64 v[6:7], v[12:13], v[0:1], v[6:7]
	v_fma_f64 v[2:3], v[0:1], v[14:15], -v[2:3]
	s_delay_alu instid0(VALU_DEP_2) | instskip(NEXT) | instid1(VALU_DEP_2)
	v_mul_f64 v[0:1], v[6:7], s[0:1]
	v_mul_f64 v[2:3], v[2:3], s[0:1]
	global_store_b128 v[4:5], v[0:3], off
.LBB0_23:
	s_endpgm
	.section	.rodata,"a",@progbits
	.p2align	6, 0x0
	.amdhsa_kernel bluestein_single_fwd_len1785_dim1_dp_op_CI_CI
		.amdhsa_group_segment_fixed_size 28560
		.amdhsa_private_segment_fixed_size 700
		.amdhsa_kernarg_size 104
		.amdhsa_user_sgpr_count 15
		.amdhsa_user_sgpr_dispatch_ptr 0
		.amdhsa_user_sgpr_queue_ptr 0
		.amdhsa_user_sgpr_kernarg_segment_ptr 1
		.amdhsa_user_sgpr_dispatch_id 0
		.amdhsa_user_sgpr_private_segment_size 0
		.amdhsa_wavefront_size32 1
		.amdhsa_uses_dynamic_stack 0
		.amdhsa_enable_private_segment 1
		.amdhsa_system_sgpr_workgroup_id_x 1
		.amdhsa_system_sgpr_workgroup_id_y 0
		.amdhsa_system_sgpr_workgroup_id_z 0
		.amdhsa_system_sgpr_workgroup_info 0
		.amdhsa_system_vgpr_workitem_id 0
		.amdhsa_next_free_vgpr 256
		.amdhsa_next_free_sgpr 58
		.amdhsa_reserve_vcc 1
		.amdhsa_float_round_mode_32 0
		.amdhsa_float_round_mode_16_64 0
		.amdhsa_float_denorm_mode_32 3
		.amdhsa_float_denorm_mode_16_64 3
		.amdhsa_dx10_clamp 1
		.amdhsa_ieee_mode 1
		.amdhsa_fp16_overflow 0
		.amdhsa_workgroup_processor_mode 1
		.amdhsa_memory_ordered 1
		.amdhsa_forward_progress 0
		.amdhsa_shared_vgpr_count 0
		.amdhsa_exception_fp_ieee_invalid_op 0
		.amdhsa_exception_fp_denorm_src 0
		.amdhsa_exception_fp_ieee_div_zero 0
		.amdhsa_exception_fp_ieee_overflow 0
		.amdhsa_exception_fp_ieee_underflow 0
		.amdhsa_exception_fp_ieee_inexact 0
		.amdhsa_exception_int_div_zero 0
	.end_amdhsa_kernel
	.text
.Lfunc_end0:
	.size	bluestein_single_fwd_len1785_dim1_dp_op_CI_CI, .Lfunc_end0-bluestein_single_fwd_len1785_dim1_dp_op_CI_CI
                                        ; -- End function
	.section	.AMDGPU.csdata,"",@progbits
; Kernel info:
; codeLenInByte = 35768
; NumSgprs: 60
; NumVgprs: 256
; ScratchSize: 700
; MemoryBound: 0
; FloatMode: 240
; IeeeMode: 1
; LDSByteSize: 28560 bytes/workgroup (compile time only)
; SGPRBlocks: 7
; VGPRBlocks: 31
; NumSGPRsForWavesPerEU: 60
; NumVGPRsForWavesPerEU: 256
; Occupancy: 4
; WaveLimiterHint : 1
; COMPUTE_PGM_RSRC2:SCRATCH_EN: 1
; COMPUTE_PGM_RSRC2:USER_SGPR: 15
; COMPUTE_PGM_RSRC2:TRAP_HANDLER: 0
; COMPUTE_PGM_RSRC2:TGID_X_EN: 1
; COMPUTE_PGM_RSRC2:TGID_Y_EN: 0
; COMPUTE_PGM_RSRC2:TGID_Z_EN: 0
; COMPUTE_PGM_RSRC2:TIDIG_COMP_CNT: 0
	.text
	.p2alignl 7, 3214868480
	.fill 96, 4, 3214868480
	.type	__hip_cuid_5b328aa39444ddd6,@object ; @__hip_cuid_5b328aa39444ddd6
	.section	.bss,"aw",@nobits
	.globl	__hip_cuid_5b328aa39444ddd6
__hip_cuid_5b328aa39444ddd6:
	.byte	0                               ; 0x0
	.size	__hip_cuid_5b328aa39444ddd6, 1

	.ident	"AMD clang version 19.0.0git (https://github.com/RadeonOpenCompute/llvm-project roc-6.4.0 25133 c7fe45cf4b819c5991fe208aaa96edf142730f1d)"
	.section	".note.GNU-stack","",@progbits
	.addrsig
	.addrsig_sym __hip_cuid_5b328aa39444ddd6
	.amdgpu_metadata
---
amdhsa.kernels:
  - .args:
      - .actual_access:  read_only
        .address_space:  global
        .offset:         0
        .size:           8
        .value_kind:     global_buffer
      - .actual_access:  read_only
        .address_space:  global
        .offset:         8
        .size:           8
        .value_kind:     global_buffer
      - .actual_access:  read_only
        .address_space:  global
        .offset:         16
        .size:           8
        .value_kind:     global_buffer
      - .actual_access:  read_only
        .address_space:  global
        .offset:         24
        .size:           8
        .value_kind:     global_buffer
      - .actual_access:  read_only
        .address_space:  global
        .offset:         32
        .size:           8
        .value_kind:     global_buffer
      - .offset:         40
        .size:           8
        .value_kind:     by_value
      - .address_space:  global
        .offset:         48
        .size:           8
        .value_kind:     global_buffer
      - .address_space:  global
        .offset:         56
        .size:           8
        .value_kind:     global_buffer
      - .address_space:  global
        .offset:         64
        .size:           8
        .value_kind:     global_buffer
      - .address_space:  global
        .offset:         72
        .size:           8
        .value_kind:     global_buffer
      - .offset:         80
        .size:           4
        .value_kind:     by_value
      - .address_space:  global
        .offset:         88
        .size:           8
        .value_kind:     global_buffer
      - .address_space:  global
        .offset:         96
        .size:           8
        .value_kind:     global_buffer
    .group_segment_fixed_size: 28560
    .kernarg_segment_align: 8
    .kernarg_segment_size: 104
    .language:       OpenCL C
    .language_version:
      - 2
      - 0
    .max_flat_workgroup_size: 119
    .name:           bluestein_single_fwd_len1785_dim1_dp_op_CI_CI
    .private_segment_fixed_size: 700
    .sgpr_count:     60
    .sgpr_spill_count: 0
    .symbol:         bluestein_single_fwd_len1785_dim1_dp_op_CI_CI.kd
    .uniform_work_group_size: 1
    .uses_dynamic_stack: false
    .vgpr_count:     256
    .vgpr_spill_count: 186
    .wavefront_size: 32
    .workgroup_processor_mode: 1
amdhsa.target:   amdgcn-amd-amdhsa--gfx1100
amdhsa.version:
  - 1
  - 2
...

	.end_amdgpu_metadata
